;; amdgpu-corpus repo=ROCm/rocFFT kind=compiled arch=gfx1201 opt=O3
	.text
	.amdgcn_target "amdgcn-amd-amdhsa--gfx1201"
	.amdhsa_code_object_version 6
	.protected	bluestein_single_fwd_len945_dim1_sp_op_CI_CI ; -- Begin function bluestein_single_fwd_len945_dim1_sp_op_CI_CI
	.globl	bluestein_single_fwd_len945_dim1_sp_op_CI_CI
	.p2align	8
	.type	bluestein_single_fwd_len945_dim1_sp_op_CI_CI,@function
bluestein_single_fwd_len945_dim1_sp_op_CI_CI: ; @bluestein_single_fwd_len945_dim1_sp_op_CI_CI
; %bb.0:
	s_load_b128 s[12:15], s[0:1], 0x28
	v_mul_u32_u24_e32 v1, 0x411, v0
	s_mov_b32 s2, exec_lo
	v_mov_b32_e32 v141, 0
	s_delay_alu instid0(VALU_DEP_2) | instskip(NEXT) | instid1(VALU_DEP_1)
	v_lshrrev_b32_e32 v1, 16, v1
	v_add_nc_u32_e32 v140, ttmp9, v1
	s_wait_kmcnt 0x0
	s_delay_alu instid0(VALU_DEP_1)
	v_cmpx_gt_u64_e64 s[12:13], v[140:141]
	s_cbranch_execz .LBB0_10
; %bb.1:
	s_clause 0x1
	s_load_b128 s[4:7], s[0:1], 0x18
	s_load_b128 s[8:11], s[0:1], 0x0
	v_mul_lo_u16 v1, v1, 63
	s_movk_i32 s2, 0xee48
	s_mov_b32 s3, -1
	s_delay_alu instid0(VALU_DEP_1) | instskip(NEXT) | instid1(VALU_DEP_1)
	v_sub_nc_u16 v64, v0, v1
	v_and_b32_e32 v176, 0xffff, v64
	v_mul_lo_u16 v32, v64, 3
	v_and_b32_e32 v42, 0xff, v64
	s_delay_alu instid0(VALU_DEP_1) | instskip(SKIP_2) | instid1(VALU_DEP_1)
	v_mul_lo_u16 v33, 0xab, v42
	s_wait_kmcnt 0x0
	s_load_b128 s[16:19], s[4:5], 0x0
	v_lshrrev_b16 v37, 9, v33
	s_wait_kmcnt 0x0
	v_mad_co_u64_u32 v[0:1], null, s18, v140, 0
	v_mad_co_u64_u32 v[2:3], null, s16, v176, 0
	s_mul_u64 s[4:5], s[16:17], 0x9d8
	s_mul_u64 s[2:3], s[16:17], s[2:3]
	s_delay_alu instid0(VALU_DEP_1) | instskip(NEXT) | instid1(VALU_DEP_1)
	v_mad_co_u64_u32 v[4:5], null, s19, v140, v[1:2]
	v_mov_b32_e32 v1, v4
	s_delay_alu instid0(VALU_DEP_3)
	v_mad_co_u64_u32 v[5:6], null, s17, v176, v[3:4]
	v_lshlrev_b32_e32 v175, 3, v176
	s_clause 0x2
	global_load_b64 v[163:164], v175, s[8:9] offset:5040
	global_load_b64 v[147:148], v175, s[8:9] offset:5544
	global_load_b64 v[149:150], v175, s[8:9] offset:3528
	v_mov_b32_e32 v3, v5
	v_lshlrev_b64_e32 v[0:1], 3, v[0:1]
	s_clause 0x9
	global_load_b64 v[167:168], v175, s[8:9]
	global_load_b64 v[165:166], v175, s[8:9] offset:504
	global_load_b64 v[153:154], v175, s[8:9] offset:1008
	;; [unrolled: 1-line block ×9, first 2 shown]
	v_lshlrev_b64_e32 v[2:3], 3, v[2:3]
	v_add_co_u32 v65, null, 0x7e, v176
	v_add_co_u32 v0, vcc_lo, s14, v0
	v_add_co_ci_u32_e32 v1, vcc_lo, s15, v1, vcc_lo
	s_delay_alu instid0(VALU_DEP_3) | instskip(NEXT) | instid1(VALU_DEP_3)
	v_mul_u32_u24_e32 v34, 3, v65
	v_add_co_u32 v0, vcc_lo, v0, v2
	s_wait_alu 0xfffd
	s_delay_alu instid0(VALU_DEP_3) | instskip(SKIP_1) | instid1(VALU_DEP_3)
	v_add_co_ci_u32_e32 v1, vcc_lo, v1, v3, vcc_lo
	v_add_co_u32 v40, null, v176, 63
	v_add_co_u32 v2, vcc_lo, v0, s4
	s_wait_alu 0xfffd
	s_delay_alu instid0(VALU_DEP_3) | instskip(SKIP_4) | instid1(VALU_DEP_2)
	v_add_co_ci_u32_e32 v3, vcc_lo, s5, v1, vcc_lo
	global_load_b64 v[0:1], v[0:1], off
	v_add_co_u32 v4, vcc_lo, v2, s4
	s_wait_alu 0xfffd
	v_add_co_ci_u32_e32 v5, vcc_lo, s5, v3, vcc_lo
	v_add_co_u32 v6, vcc_lo, v4, s2
	s_wait_alu 0xfffd
	s_delay_alu instid0(VALU_DEP_2) | instskip(NEXT) | instid1(VALU_DEP_2)
	v_add_co_ci_u32_e32 v7, vcc_lo, s3, v5, vcc_lo
	v_add_co_u32 v8, vcc_lo, v6, s4
	s_wait_alu 0xfffd
	s_delay_alu instid0(VALU_DEP_2)
	v_add_co_ci_u32_e32 v9, vcc_lo, s5, v7, vcc_lo
	s_clause 0x2
	global_load_b64 v[2:3], v[2:3], off
	global_load_b64 v[4:5], v[4:5], off
	;; [unrolled: 1-line block ×3, first 2 shown]
	v_add_co_u32 v10, vcc_lo, v8, s4
	s_wait_alu 0xfffd
	v_add_co_ci_u32_e32 v11, vcc_lo, s5, v9, vcc_lo
	global_load_b64 v[8:9], v[8:9], off
	v_add_co_u32 v12, vcc_lo, v10, s2
	s_wait_alu 0xfffd
	v_add_co_ci_u32_e32 v13, vcc_lo, s3, v11, vcc_lo
	v_and_b32_e32 v41, 0xff, v65
	s_delay_alu instid0(VALU_DEP_3) | instskip(SKIP_1) | instid1(VALU_DEP_3)
	v_add_co_u32 v14, vcc_lo, v12, s4
	s_wait_alu 0xfffd
	v_add_co_ci_u32_e32 v15, vcc_lo, s5, v13, vcc_lo
	global_load_b64 v[10:11], v[10:11], off
	v_add_co_u32 v16, vcc_lo, v14, s4
	s_wait_alu 0xfffd
	v_add_co_ci_u32_e32 v17, vcc_lo, s5, v15, vcc_lo
	global_load_b64 v[14:15], v[14:15], off
	;; [unrolled: 4-line block ×5, first 2 shown]
	v_add_co_u32 v20, vcc_lo, v22, s2
	s_wait_alu 0xfffd
	v_add_co_ci_u32_e32 v21, vcc_lo, s3, v23, vcc_lo
	v_lshlrev_b32_e32 v180, 3, v34
	s_delay_alu instid0(VALU_DEP_3) | instskip(SKIP_1) | instid1(VALU_DEP_3)
	v_add_co_u32 v26, vcc_lo, v20, s4
	s_wait_alu 0xfffd
	v_add_co_ci_u32_e32 v27, vcc_lo, s5, v21, vcc_lo
	global_load_b64 v[28:29], v[20:21], off
	v_add_co_u32 v20, vcc_lo, v26, s4
	s_wait_alu 0xfffd
	v_add_co_ci_u32_e32 v21, vcc_lo, s5, v27, vcc_lo
	global_load_b64 v[18:19], v[18:19], off
	global_load_b64 v[22:23], v[22:23], off
	v_and_b32_e32 v32, 0xffff, v32
	v_and_b32_e32 v43, 0xff, v40
	v_cmp_gt_u16_e32 vcc_lo, 9, v64
	s_delay_alu instid0(VALU_DEP_3) | instskip(SKIP_1) | instid1(VALU_DEP_4)
	v_lshlrev_b32_e32 v177, 3, v32
	v_mul_u32_u24_e32 v32, 3, v40
	v_mul_lo_u16 v33, 0xab, v43
	s_delay_alu instid0(VALU_DEP_2) | instskip(SKIP_1) | instid1(VALU_DEP_3)
	v_lshlrev_b32_e32 v181, 3, v32
	v_mul_lo_u16 v32, v37, 3
	v_lshrrev_b16 v45, 9, v33
	s_delay_alu instid0(VALU_DEP_2) | instskip(NEXT) | instid1(VALU_DEP_2)
	v_sub_nc_u16 v32, v64, v32
	v_mul_lo_u16 v33, v45, 3
	s_delay_alu instid0(VALU_DEP_2) | instskip(NEXT) | instid1(VALU_DEP_2)
	v_and_b32_e32 v48, 0xff, v32
	v_sub_nc_u16 v49, v40, v33
	s_wait_loadcnt 0xc
	v_mul_f32_e32 v32, v1, v168
	s_delay_alu instid0(VALU_DEP_1)
	v_fmac_f32_e32 v32, v0, v167
	s_wait_loadcnt 0xa
	v_mul_f32_e32 v50, v4, v164
	v_mul_lo_u16 v34, 0xab, v41
	s_wait_loadcnt 0x9
	v_mul_f32_e32 v51, v6, v166
	s_delay_alu instid0(VALU_DEP_2)
	v_lshrrev_b16 v46, 9, v34
	v_mul_f32_e32 v34, v3, v170
	global_load_b64 v[155:156], v175, s[8:9] offset:4536
	global_load_b64 v[26:27], v[26:27], off
	global_load_b64 v[157:158], v175, s[8:9] offset:7056
	global_load_b64 v[30:31], v[20:21], off
	v_add_co_u32 v20, null, 0xbd, v176
	v_add_nc_u32_e32 v70, 0x800, v175
	v_add_nc_u32_e32 v69, 0x1000, v175
	v_dual_fmac_f32 v34, v2, v169 :: v_dual_add_nc_u32 v67, 0xc00, v175
	s_delay_alu instid0(VALU_DEP_4) | instskip(SKIP_3) | instid1(VALU_DEP_4)
	v_mul_u32_u24_e32 v35, 3, v20
	v_and_b32_e32 v38, 0xff, v20
	v_add_nc_u32_e32 v68, 0x1800, v175
	v_add_co_u32 v21, null, 0xfc, v176
	v_lshlrev_b32_e32 v179, 3, v35
	s_delay_alu instid0(VALU_DEP_4)
	v_mul_lo_u16 v35, 0xab, v38
	v_add_nc_u32_e32 v71, 0x400, v175
	v_add_nc_u32_e32 v66, 0x1400, v175
	s_load_b128 s[4:7], s[6:7], 0x0
	v_mul_u32_u24_e32 v36, 3, v21
	v_lshrrev_b16 v47, 9, v35
	v_mul_f32_e32 v35, v0, v168
	v_dual_mul_f32 v0, v5, v164 :: v_dual_and_b32 v39, 0xffff, v21
	v_mul_lo_u16 v44, v46, 3
	v_lshlrev_b32_e32 v178, 3, v36
	s_delay_alu instid0(VALU_DEP_4)
	v_fma_f32 v33, v1, v167, -v35
	v_mul_f32_e32 v1, v2, v170
	v_mul_f32_e32 v2, v7, v166
	v_fmac_f32_e32 v0, v4, v163
	s_wait_loadcnt 0xc
	v_mul_f32_e32 v4, v9, v162
	v_mul_u32_u24_e32 v36, 0xaaab, v39
	v_fma_f32 v35, v3, v169, -v1
	v_fmac_f32_e32 v2, v6, v165
	v_fma_f32 v3, v7, v165, -v51
	v_fma_f32 v1, v5, v163, -v50
	v_mul_f32_e32 v5, v8, v162
	ds_store_b64 v175, v[34:35] offset:2520
	ds_store_b64 v175, v[0:1] offset:5040
	ds_store_2addr_b64 v175, v[32:33], v[2:3] offset1:63
	s_wait_loadcnt 0xa
	v_mul_f32_e32 v6, v15, v150
	v_dual_mul_f32 v3, v14, v150 :: v_dual_mul_f32 v0, v11, v148
	v_fmac_f32_e32 v4, v8, v161
	v_fma_f32 v5, v9, v161, -v5
	s_wait_loadcnt 0x8
	v_dual_mul_f32 v2, v13, v154 :: v_dual_mul_f32 v9, v16, v160
	v_mul_f32_e32 v8, v12, v154
	v_fmac_f32_e32 v6, v14, v149
	v_fma_f32 v7, v15, v149, -v3
	v_mul_f32_e32 v1, v10, v148
	v_fma_f32 v9, v17, v159, -v9
	v_lshrrev_b32_e32 v36, 17, v36
	v_and_b32_e32 v32, 0xff, v49
	ds_store_2addr_b64 v70, v[4:5], v[6:7] offset0:122 offset1:185
	s_wait_loadcnt 0x5
	v_mul_f32_e32 v5, v18, v152
	v_fma_f32 v1, v11, v147, -v1
	v_mul_f32_e32 v4, v25, v142
	s_wait_loadcnt 0x4
	v_mul_f32_e32 v6, v23, v144
	v_mul_f32_e32 v7, v22, v144
	v_fma_f32 v11, v19, v151, -v5
	v_mul_f32_e32 v5, v24, v142
	v_fmac_f32_e32 v4, v24, v141
	v_fmac_f32_e32 v6, v22, v143
	v_fma_f32 v7, v23, v143, -v7
	s_delay_alu instid0(VALU_DEP_4)
	v_fma_f32 v5, v25, v141, -v5
	s_wait_loadcnt 0x2
	v_mul_f32_e32 v15, v26, v156
	v_fma_f32 v3, v13, v153, -v8
	v_dual_mul_f32 v8, v17, v160 :: v_dual_mul_f32 v13, v28, v146
	s_wait_loadcnt 0x0
	v_mul_f32_e32 v17, v30, v158
	v_dual_fmac_f32 v0, v10, v147 :: v_dual_lshlrev_b32 v33, 4, v48
	v_mul_f32_e32 v10, v19, v152
	v_mul_f32_e32 v14, v27, v156
	v_fmac_f32_e32 v8, v16, v159
	v_mul_f32_e32 v16, v31, v158
	v_fma_f32 v13, v29, v145, -v13
	v_fmac_f32_e32 v10, v18, v151
	v_sub_nc_u16 v18, v65, v44
	v_fmac_f32_e32 v2, v12, v153
	v_mul_f32_e32 v12, v29, v146
	v_fmac_f32_e32 v14, v26, v155
	v_fma_f32 v15, v27, v155, -v15
	v_fmac_f32_e32 v16, v30, v157
	v_fma_f32 v17, v31, v157, -v17
	v_dual_fmac_f32 v12, v28, v145 :: v_dual_and_b32 v49, 0xff, v18
	ds_store_2addr_b64 v69, v[0:1], v[8:9] offset0:181 offset1:244
	ds_store_2addr_b64 v175, v[2:3], v[10:11] offset0:126 offset1:189
	ds_store_b64 v175, v[12:13] offset:2016
	ds_store_2addr_b64 v67, v[4:5], v[14:15] offset0:120 offset1:183
	ds_store_2addr_b64 v68, v[6:7], v[16:17] offset0:51 offset1:114
	v_mul_lo_u16 v16, v47, 3
	v_mul_lo_u16 v17, v36, 3
	global_wb scope:SCOPE_SE
	s_wait_dscnt 0x0
	s_wait_kmcnt 0x0
	s_barrier_signal -1
	s_barrier_wait -1
	global_inv scope:SCOPE_SE
	ds_load_2addr_b64 v[0:3], v175 offset1:63
	ds_load_2addr_b64 v[4:7], v71 offset0:124 offset1:187
	ds_load_2addr_b64 v[8:11], v69 offset0:118 offset1:181
	;; [unrolled: 1-line block ×3, first 2 shown]
	v_sub_nc_u16 v34, v20, v16
	v_sub_nc_u16 v35, v21, v17
	ds_load_2addr_b64 v[16:19], v175 offset0:126 offset1:189
	ds_load_2addr_b64 v[22:25], v66 offset0:116 offset1:179
	;; [unrolled: 1-line block ×3, first 2 shown]
	ds_load_b64 v[30:31], v175 offset:7056
	global_wb scope:SCOPE_SE
	s_wait_dscnt 0x0
	s_barrier_signal -1
	s_barrier_wait -1
	global_inv scope:SCOPE_SE
	v_add_f32_e32 v53, v1, v7
	v_sub_f32_e32 v55, v6, v8
	v_add_f32_e32 v63, v17, v15
	v_add_f32_e32 v59, v3, v13
	;; [unrolled: 1-line block ×3, first 2 shown]
	v_sub_f32_e32 v58, v13, v11
	v_dual_add_f32 v13, v13, v11 :: v_dual_add_f32 v50, v0, v6
	v_add_f32_e32 v54, v7, v9
	v_dual_add_f32 v79, v5, v29 :: v_dual_sub_f32 v60, v12, v10
	s_delay_alu instid0(VALU_DEP_3) | instskip(SKIP_1) | instid1(VALU_DEP_4)
	v_dual_fmac_f32 v3, -0.5, v13 :: v_dual_sub_f32 v62, v15, v23
	v_add_f32_e32 v15, v15, v23
	v_fma_f32 v1, -0.5, v54, v1
	v_sub_f32_e32 v72, v14, v22
	v_add_f32_e32 v51, v6, v8
	v_add_f32_e32 v57, v12, v10
	v_fma_f32 v13, -0.5, v15, v17
	v_sub_f32_e32 v74, v27, v25
	v_dual_add_f32 v27, v27, v25 :: v_dual_sub_f32 v78, v29, v31
	v_dual_add_f32 v29, v29, v31 :: v_dual_sub_f32 v52, v7, v9
	v_add_f32_e32 v56, v2, v12
	v_add_f32_e32 v12, v16, v14
	;; [unrolled: 1-line block ×3, first 2 shown]
	s_delay_alu instid0(VALU_DEP_4)
	v_fmac_f32_e32 v5, -0.5, v29
	v_add_f32_e32 v73, v26, v24
	v_dual_fmac_f32 v19, -0.5, v27 :: v_dual_sub_f32 v80, v28, v30
	v_dual_sub_f32 v76, v26, v24 :: v_dual_add_f32 v77, v28, v30
	v_fma_f32 v0, -0.5, v51, v0
	v_fma_f32 v2, -0.5, v57, v2
	v_add_f32_e32 v17, v79, v31
	v_dual_fmamk_f32 v31, v80, 0xbf5db3d7, v5 :: v_dual_add_f32 v14, v18, v26
	v_lshlrev_b32_e32 v44, 4, v32
	v_add_f32_e32 v26, v4, v28
	v_dual_add_f32 v6, v50, v8 :: v_dual_fmamk_f32 v29, v76, 0xbf5db3d7, v19
	v_add_f32_e32 v7, v53, v9
	v_add_f32_e32 v9, v59, v11
	v_add_f32_e32 v11, v63, v23
	v_fma_f32 v18, -0.5, v73, v18
	v_dual_fmac_f32 v19, 0x3f5db3d7, v76 :: v_dual_add_f32 v8, v56, v10
	v_dual_fmac_f32 v5, 0x3f5db3d7, v80 :: v_dual_add_f32 v10, v12, v22
	v_fma_f32 v12, -0.5, v61, v16
	v_fma_f32 v4, -0.5, v77, v4
	v_fmamk_f32 v22, v52, 0x3f5db3d7, v0
	v_dual_fmamk_f32 v23, v55, 0xbf5db3d7, v1 :: v_dual_fmac_f32 v0, 0xbf5db3d7, v52
	v_fmac_f32_e32 v1, 0x3f5db3d7, v55
	v_add_f32_e32 v15, v75, v25
	v_fmamk_f32 v25, v60, 0xbf5db3d7, v3
	v_fmac_f32_e32 v3, 0x3f5db3d7, v60
	v_add_f32_e32 v14, v14, v24
	v_fmamk_f32 v24, v58, 0x3f5db3d7, v2
	;; [unrolled: 3-line block ×3, first 2 shown]
	v_fmamk_f32 v27, v72, 0xbf5db3d7, v13
	v_fmamk_f32 v28, v74, 0x3f5db3d7, v18
	v_fmac_f32_e32 v18, 0xbf5db3d7, v74
	v_fmac_f32_e32 v12, 0xbf5db3d7, v62
	v_dual_fmac_f32 v13, 0x3f5db3d7, v72 :: v_dual_fmamk_f32 v30, v78, 0x3f5db3d7, v4
	v_fmac_f32_e32 v4, 0xbf5db3d7, v78
	ds_store_2addr_b64 v177, v[6:7], v[22:23] offset1:1
	ds_store_b64 v177, v[0:1] offset:16
	ds_store_2addr_b64 v181, v[8:9], v[24:25] offset1:1
	ds_store_b64 v181, v[2:3] offset:16
	;; [unrolled: 2-line block ×5, first 2 shown]
	global_wb scope:SCOPE_SE
	s_wait_dscnt 0x0
	s_barrier_signal -1
	s_barrier_wait -1
	global_inv scope:SCOPE_SE
	global_load_b128 v[16:19], v44, s[10:11]
	v_lshlrev_b32_e32 v1, 4, v49
	global_load_b128 v[12:15], v33, s[10:11]
	v_lshlrev_b16 v0, 1, v35
	v_mul_lo_u16 v22, v42, 57
	v_mul_lo_u16 v26, v38, 57
	global_load_b128 v[8:11], v1, s[10:11]
	v_and_b32_e32 v33, 0xff, v34
	v_and_b32_e32 v0, 0xffff, v0
	v_mul_u32_u24_e32 v27, 0xe38f, v39
	v_lshrrev_b16 v59, 9, v22
	v_and_b32_e32 v22, 0xffff, v37
	v_lshlrev_b32_e32 v2, 4, v33
	v_lshlrev_b32_e32 v0, 3, v0
	s_clause 0x1
	global_load_b128 v[4:7], v2, s[10:11]
	global_load_b128 v[0:3], v0, s[10:11]
	v_lshrrev_b16 v62, 9, v26
	v_lshrrev_b32_e32 v44, 19, v27
	v_mul_u32_u24_e32 v22, 9, v22
	v_mul_lo_u16 v25, v41, 57
	v_mul_lo_u16 v24, v43, 57
	;; [unrolled: 1-line block ×4, first 2 shown]
	v_add_lshl_u32 v184, v22, v48, 3
	v_lshrrev_b16 v61, 9, v25
	v_lshrrev_b16 v60, 9, v24
	v_sub_nc_u16 v72, v20, v28
	v_sub_nc_u16 v48, v21, v29
	ds_load_2addr_b64 v[28:31], v70 offset0:122 offset1:185
	v_and_b32_e32 v24, 0xffff, v45
	v_mul_lo_u16 v27, v61, 9
	v_and_b32_e32 v25, 0xffff, v46
	v_mul_lo_u16 v23, v59, 9
	v_mad_u16 v35, v36, 9, v35
	v_mul_u32_u24_e32 v34, 9, v24
	v_sub_nc_u16 v24, v65, v27
	v_mul_u32_u24_e32 v37, 9, v25
	v_sub_nc_u16 v23, v64, v23
	v_mul_lo_u16 v41, v41, 19
	v_add_lshl_u32 v186, v34, v32, 3
	v_mad_u16 v44, v44, 27, v48
	v_add_lshl_u32 v185, v37, v49, 3
	v_and_b32_e32 v45, 0xff, v23
	v_mul_lo_u16 v23, v60, 9
	v_lshlrev_b16 v73, 4, v48
	v_mul_lo_u16 v43, v43, 19
	v_mul_lo_u16 v42, v42, 19
	v_lshlrev_b32_e32 v63, 4, v45
	v_sub_nc_u16 v22, v40, v23
	s_wait_loadcnt_dscnt 0x400
	v_mul_f32_e32 v80, v28, v17
	v_mul_f32_e32 v79, v29, v17
	s_delay_alu instid0(VALU_DEP_2) | instskip(SKIP_4) | instid1(VALU_DEP_3)
	v_fmac_f32_e32 v80, v29, v16
	v_and_b32_e32 v26, 0xffff, v47
	s_wait_loadcnt 0x2
	v_dual_mul_f32 v84, v30, v9 :: v_dual_and_b32 v47, 0xff, v24
	v_mul_f32_e32 v83, v31, v9
	v_mul_u32_u24_e32 v38, 9, v26
	ds_load_2addr_b64 v[24:27], v69 offset0:118 offset1:181
	v_fmac_f32_e32 v84, v31, v8
	v_add_lshl_u32 v183, v38, v33, 3
	s_wait_dscnt 0x0
	v_mul_f32_e32 v78, v24, v15
	v_mul_f32_e32 v77, v25, v15
	;; [unrolled: 1-line block ×4, first 2 shown]
	s_delay_alu instid0(VALU_DEP_4)
	v_fmac_f32_e32 v78, v25, v14
	v_fma_f32 v25, v30, v8, -v83
	v_and_b32_e32 v46, 0xff, v22
	ds_load_2addr_b64 v[20:23], v71 offset0:124 offset1:187
	v_fma_f32 v26, v26, v18, -v81
	s_wait_dscnt 0x0
	v_mul_f32_e32 v76, v22, v13
	v_mul_f32_e32 v75, v23, v13
	s_delay_alu instid0(VALU_DEP_2)
	v_fmac_f32_e32 v76, v23, v12
	v_fma_f32 v23, v24, v14, -v77
	v_fma_f32 v24, v28, v16, -v79
	v_and_b32_e32 v36, 0xffff, v35
	ds_load_2addr_b64 v[32:35], v66 offset0:116 offset1:179
	v_fma_f32 v22, v22, v12, -v75
	s_delay_alu instid0(VALU_DEP_1) | instskip(SKIP_4) | instid1(VALU_DEP_2)
	v_add_f32_e32 v31, v22, v23
	s_wait_dscnt 0x0
	v_mul_f32_e32 v86, v32, v11
	v_mul_f32_e32 v85, v33, v11
	s_wait_loadcnt 0x1
	v_dual_mul_f32 v89, v35, v7 :: v_dual_fmac_f32 v86, v33, v10
	s_delay_alu instid0(VALU_DEP_2) | instskip(NEXT) | instid1(VALU_DEP_2)
	v_fma_f32 v28, v32, v10, -v85
	v_fma_f32 v32, v34, v6, -v89
	s_delay_alu instid0(VALU_DEP_3)
	v_add_f32_e32 v83, v84, v86
	v_fmac_f32_e32 v82, v27, v18
	v_lshlrev_b32_e32 v182, 3, v36
	ds_load_2addr_b64 v[36:39], v67 offset0:120 offset1:183
	ds_load_2addr_b64 v[49:52], v175 offset1:63
	ds_load_2addr_b64 v[53:56], v175 offset0:126 offset1:189
	ds_load_b64 v[57:58], v175 offset:7056
	v_dual_mul_f32 v90, v34, v7 :: v_dual_add_f32 v79, v25, v28
	global_wb scope:SCOPE_SE
	s_wait_loadcnt_dscnt 0x0
	s_barrier_signal -1
	s_barrier_wait -1
	global_inv scope:SCOPE_SE
	v_mul_f32_e32 v91, v39, v1
	v_mul_f32_e32 v87, v37, v5
	v_add_f32_e32 v77, v53, v25
	v_dual_mul_f32 v93, v58, v3 :: v_dual_lshlrev_b32 v74, 4, v46
	s_delay_alu instid0(VALU_DEP_4) | instskip(NEXT) | instid1(VALU_DEP_4)
	v_fma_f32 v29, v38, v0, -v91
	v_fma_f32 v27, v36, v4, -v87
	v_mul_f32_e32 v94, v57, v3
	s_delay_alu instid0(VALU_DEP_4)
	v_fma_f32 v34, v57, v2, -v93
	v_mul_f32_e32 v88, v36, v5
	v_add_f32_e32 v95, v20, v29
	v_add_f32_e32 v87, v27, v32
	;; [unrolled: 1-line block ×3, first 2 shown]
	v_sub_f32_e32 v99, v29, v34
	v_fmac_f32_e32 v88, v37, v4
	v_sub_f32_e32 v93, v27, v32
	v_fma_f32 v55, -0.5, v87, v55
	v_add_f32_e32 v96, v29, v34
	v_add_f32_e32 v32, v85, v32
	v_dual_add_f32 v91, v56, v88 :: v_dual_fmac_f32 v90, v35, v6
	v_mul_f32_e32 v92, v38, v1
	v_sub_f32_e32 v38, v22, v23
	v_add_f32_e32 v34, v95, v34
	s_delay_alu instid0(VALU_DEP_4) | instskip(SKIP_3) | instid1(VALU_DEP_2)
	v_sub_f32_e32 v89, v88, v90
	v_fmac_f32_e32 v94, v58, v2
	v_add_f32_e32 v58, v52, v80
	v_dual_fmac_f32 v92, v39, v0 :: v_dual_add_f32 v39, v24, v26
	v_add_f32_e32 v27, v58, v82
	s_delay_alu instid0(VALU_DEP_2) | instskip(NEXT) | instid1(VALU_DEP_1)
	v_dual_add_f32 v75, v80, v82 :: v_dual_add_f32 v98, v21, v92
	v_dual_sub_f32 v57, v80, v82 :: v_dual_fmac_f32 v52, -0.5, v75
	v_add_f32_e32 v30, v49, v22
	v_lshrrev_b16 v75, 9, v41
	v_and_b32_e32 v41, 0xffff, v60
	v_fma_f32 v20, -0.5, v96, v20
	s_delay_alu instid0(VALU_DEP_4)
	v_add_f32_e32 v22, v30, v23
	v_fma_f32 v30, -0.5, v79, v53
	v_fmamk_f32 v53, v89, 0x3f5db3d7, v55
	v_sub_f32_e32 v97, v92, v94
	v_dual_add_f32 v33, v50, v76 :: v_dual_add_f32 v92, v92, v94
	v_add_f32_e32 v36, v51, v24
	v_fma_f32 v51, -0.5, v39, v51
	v_fmac_f32_e32 v55, 0xbf5db3d7, v89
	s_delay_alu instid0(VALU_DEP_4)
	v_fmac_f32_e32 v21, -0.5, v92
	v_sub_f32_e32 v37, v76, v78
	v_add_f32_e32 v35, v76, v78
	v_sub_f32_e32 v76, v24, v26
	v_fma_f32 v24, -0.5, v31, v49
	v_add_f32_e32 v23, v33, v78
	v_dual_sub_f32 v80, v84, v86 :: v_dual_add_f32 v81, v54, v84
	v_sub_f32_e32 v84, v25, v28
	v_fma_f32 v31, -0.5, v83, v54
	v_fma_f32 v25, -0.5, v35, v50
	v_fmamk_f32 v58, v99, 0xbf5db3d7, v21
	v_fmac_f32_e32 v21, 0x3f5db3d7, v99
	v_fmamk_f32 v39, v76, 0xbf5db3d7, v52
	v_fmamk_f32 v50, v84, 0xbf5db3d7, v31
	v_fmac_f32_e32 v31, 0x3f5db3d7, v84
	v_add_f32_e32 v33, v91, v90
	v_add_f32_e32 v88, v88, v90
	v_fmac_f32_e32 v52, 0x3f5db3d7, v76
	v_fmamk_f32 v49, v80, 0x3f5db3d7, v30
	v_lshrrev_b16 v76, 9, v43
	s_delay_alu instid0(VALU_DEP_4)
	v_dual_fmac_f32 v56, -0.5, v88 :: v_dual_and_b32 v43, 0xffff, v61
	v_add_f32_e32 v35, v98, v94
	v_add_f32_e32 v26, v36, v26
	v_fmamk_f32 v36, v37, 0x3f5db3d7, v24
	v_dual_fmac_f32 v24, 0xbf5db3d7, v37 :: v_dual_fmamk_f32 v37, v38, 0xbf5db3d7, v25
	v_fmac_f32_e32 v25, 0x3f5db3d7, v38
	v_fmamk_f32 v38, v57, 0x3f5db3d7, v51
	v_dual_fmac_f32 v51, 0xbf5db3d7, v57 :: v_dual_add_f32 v28, v77, v28
	v_add_f32_e32 v29, v81, v86
	v_fmamk_f32 v57, v97, 0x3f5db3d7, v20
	v_fmac_f32_e32 v20, 0xbf5db3d7, v97
	v_fmac_f32_e32 v30, 0xbf5db3d7, v80
	v_fmamk_f32 v54, v93, 0xbf5db3d7, v56
	v_fmac_f32_e32 v56, 0x3f5db3d7, v93
	ds_store_2addr_b64 v184, v[22:23], v[36:37] offset1:3
	ds_store_b64 v184, v[24:25] offset:48
	ds_store_2addr_b64 v186, v[26:27], v[38:39] offset1:3
	ds_store_b64 v186, v[51:52] offset:48
	;; [unrolled: 2-line block ×5, first 2 shown]
	v_lshlrev_b32_e32 v20, 4, v47
	global_wb scope:SCOPE_SE
	s_wait_dscnt 0x0
	s_barrier_signal -1
	s_barrier_wait -1
	global_inv scope:SCOPE_SE
	s_clause 0x2
	global_load_b128 v[32:35], v63, s[10:11] offset:48
	global_load_b128 v[28:31], v20, s[10:11] offset:48
	;; [unrolled: 1-line block ×3, first 2 shown]
	v_and_b32_e32 v21, 0xffff, v73
	v_and_b32_e32 v56, 0xff, v72
	v_lshrrev_b16 v74, 9, v42
	v_mul_lo_u16 v42, v59, 27
	v_mul_u32_u24_e32 v57, 27, v43
	v_add_co_u32 v20, s2, s10, v21
	v_lshlrev_b32_e32 v22, 4, v56
	s_wait_alu 0xf1ff
	v_add_co_ci_u32_e64 v21, null, s11, 0, s2
	s_clause 0x1
	global_load_b128 v[24:27], v22, s[10:11] offset:48
	global_load_b128 v[20:23], v[20:21], off offset:48
	ds_load_2addr_b64 v[52:55], v70 offset0:122 offset1:185
	v_mul_lo_u16 v49, v74, 27
	v_add_lshl_u32 v189, v57, v47, 3
	v_mul_lo_u16 v83, v75, 27
	s_load_b64 s[2:3], s[0:1], 0x38
	v_and_b32_e32 v75, 0xffff, v75
	v_sub_nc_u16 v49, v64, v49
	s_delay_alu instid0(VALU_DEP_2)
	v_mul_u32_u24_e32 v75, 0x87, v75
	s_wait_loadcnt_dscnt 0x300
	v_mul_f32_e32 v94, v54, v29
	s_wait_loadcnt 0x2
	v_mul_f32_e32 v90, v52, v37
	v_mul_f32_e32 v93, v55, v29
	s_delay_alu instid0(VALU_DEP_3) | instskip(SKIP_4) | instid1(VALU_DEP_4)
	v_dual_mul_f32 v89, v53, v37 :: v_dual_fmac_f32 v94, v55, v28
	v_and_b32_e32 v50, 0xffff, v62
	v_and_b32_e32 v72, 0xff, v49
	v_mul_lo_u16 v49, v76, 27
	v_fmac_f32_e32 v90, v53, v36
	v_mul_u32_u24_e32 v58, 27, v50
	s_delay_alu instid0(VALU_DEP_3) | instskip(SKIP_3) | instid1(VALU_DEP_1)
	v_sub_nc_u16 v59, v40, v49
	ds_load_2addr_b64 v[48:51], v69 offset0:118 offset1:181
	v_and_b32_e32 v73, 0xff, v59
	v_and_b32_e32 v59, 0xffff, v44
	v_lshlrev_b32_e32 v187, 3, v59
	s_wait_dscnt 0x0
	v_mul_f32_e32 v92, v50, v39
	v_mul_f32_e32 v91, v51, v39
	s_delay_alu instid0(VALU_DEP_2) | instskip(SKIP_1) | instid1(VALU_DEP_1)
	v_dual_mul_f32 v87, v49, v35 :: v_dual_fmac_f32 v92, v51, v38
	v_and_b32_e32 v42, 0xff, v42
	v_add_lshl_u32 v190, v42, v45, 3
	v_mul_u32_u24_e32 v45, 27, v41
	ds_load_2addr_b64 v[40:43], v71 offset0:124 offset1:187
	v_add_lshl_u32 v191, v45, v46, 3
	ds_load_2addr_b64 v[44:47], v66 offset0:116 offset1:179
	s_wait_dscnt 0x1
	v_mul_f32_e32 v86, v42, v33
	s_wait_loadcnt_dscnt 0x100
	v_dual_mul_f32 v85, v43, v33 :: v_dual_mul_f32 v100, v46, v27
	s_delay_alu instid0(VALU_DEP_2) | instskip(SKIP_1) | instid1(VALU_DEP_3)
	v_dual_mul_f32 v95, v45, v31 :: v_dual_fmac_f32 v86, v43, v32
	v_fma_f32 v43, v48, v34, -v87
	v_fma_f32 v42, v42, v32, -v85
	s_delay_alu instid0(VALU_DEP_4)
	v_fmac_f32_e32 v100, v47, v26
	v_mul_f32_e32 v88, v48, v35
	v_fma_f32 v51, v44, v30, -v95
	v_add_f32_e32 v85, v90, v92
	v_mul_f32_e32 v99, v47, v27
	v_fma_f32 v48, v52, v36, -v89
	v_fmac_f32_e32 v88, v49, v34
	v_fma_f32 v49, v50, v38, -v91
	v_fma_f32 v50, v54, v28, -v93
	;; [unrolled: 1-line block ×3, first 2 shown]
	v_add_f32_e32 v47, v42, v43
	s_delay_alu instid0(VALU_DEP_3)
	v_add_f32_e32 v87, v50, v51
	v_add_lshl_u32 v188, v58, v56, 3
	ds_load_2addr_b64 v[56:59], v67 offset0:120 offset1:183
	ds_load_2addr_b64 v[60:63], v175 offset1:63
	ds_load_2addr_b64 v[77:80], v175 offset0:126 offset1:189
	ds_load_b64 v[81:82], v175 offset:7056
	v_sub_f32_e32 v93, v50, v51
	global_wb scope:SCOPE_SE
	s_wait_loadcnt_dscnt 0x0
	s_wait_kmcnt 0x0
	s_barrier_signal -1
	s_barrier_wait -1
	global_inv scope:SCOPE_SE
	v_mul_f32_e32 v101, v59, v21
	v_dual_add_f32 v53, v61, v86 :: v_dual_mul_f32 v96, v44, v31
	v_mul_f32_e32 v103, v82, v23
	v_mul_f32_e32 v104, v81, v23
	;; [unrolled: 1-line block ×3, first 2 shown]
	s_delay_alu instid0(VALU_DEP_3) | instskip(NEXT) | instid1(VALU_DEP_3)
	v_fma_f32 v54, v81, v22, -v103
	v_fmac_f32_e32 v104, v82, v22
	v_fmac_f32_e32 v96, v45, v30
	v_fma_f32 v45, v58, v20, -v101
	v_fma_f32 v44, v56, v24, -v97
	v_sub_f32_e32 v81, v90, v92
	s_delay_alu instid0(VALU_DEP_4) | instskip(NEXT) | instid1(VALU_DEP_4)
	v_sub_f32_e32 v89, v94, v96
	v_add_f32_e32 v105, v45, v54
	v_add_f32_e32 v103, v40, v45
	;; [unrolled: 1-line block ×4, first 2 shown]
	v_sub_f32_e32 v101, v44, v52
	v_fma_f32 v40, -0.5, v105, v40
	v_add_f32_e32 v82, v63, v90
	v_mul_f32_e32 v98, v56, v25
	v_add_f32_e32 v90, v78, v94
	v_add_f32_e32 v94, v79, v44
	v_fma_f32 v44, -0.5, v47, v60
	v_add_f32_e32 v47, v82, v92
	v_dual_fmac_f32 v63, -0.5, v85 :: v_dual_fmac_f32 v98, v57, v24
	v_lshlrev_b32_e32 v84, 5, v72
	v_fma_f32 v79, -0.5, v95, v79
	v_add_f32_e32 v46, v60, v42
	v_sub_f32_e32 v108, v45, v54
	v_dual_add_f32 v99, v80, v98 :: v_dual_mul_f32 v102, v58, v21
	v_sub_f32_e32 v58, v42, v43
	s_delay_alu instid0(VALU_DEP_4) | instskip(NEXT) | instid1(VALU_DEP_3)
	v_dual_add_f32 v42, v46, v43 :: v_dual_add_f32 v43, v53, v88
	v_add_f32_e32 v53, v99, v100
	s_delay_alu instid0(VALU_DEP_4) | instskip(SKIP_3) | instid1(VALU_DEP_4)
	v_fmac_f32_e32 v102, v59, v20
	v_dual_add_f32 v56, v62, v48 :: v_dual_add_f32 v59, v48, v49
	v_add_f32_e32 v52, v94, v52
	v_add_f32_e32 v54, v103, v54
	v_dual_sub_f32 v106, v102, v104 :: v_dual_add_f32 v107, v41, v102
	v_add_f32_e32 v102, v102, v104
	v_fma_f32 v62, -0.5, v59, v62
	s_delay_alu instid0(VALU_DEP_2) | instskip(SKIP_4) | instid1(VALU_DEP_4)
	v_dual_add_f32 v46, v56, v49 :: v_dual_fmac_f32 v41, -0.5, v102
	v_sub_f32_e32 v57, v86, v88
	v_dual_add_f32 v55, v86, v88 :: v_dual_sub_f32 v86, v48, v49
	v_add_f32_e32 v48, v77, v50
	v_fma_f32 v50, -0.5, v87, v77
	v_fmamk_f32 v56, v57, 0x3f5db3d7, v44
	s_delay_alu instid0(VALU_DEP_4) | instskip(NEXT) | instid1(VALU_DEP_4)
	v_fma_f32 v45, -0.5, v55, v61
	v_dual_fmamk_f32 v59, v86, 0xbf5db3d7, v63 :: v_dual_add_f32 v48, v48, v51
	v_fma_f32 v51, -0.5, v91, v78
	v_fmac_f32_e32 v63, 0x3f5db3d7, v86
	v_fmac_f32_e32 v44, 0xbf5db3d7, v57
	v_fmamk_f32 v82, v108, 0xbf5db3d7, v41
	v_fmac_f32_e32 v41, 0x3f5db3d7, v108
	v_fmamk_f32 v61, v93, 0xbf5db3d7, v51
	v_sub_f32_e32 v97, v98, v100
	v_add_f32_e32 v98, v98, v100
	v_fmamk_f32 v57, v58, 0xbf5db3d7, v45
	v_dual_fmac_f32 v45, 0x3f5db3d7, v58 :: v_dual_fmamk_f32 v58, v81, 0x3f5db3d7, v62
	v_fmac_f32_e32 v62, 0xbf5db3d7, v81
	s_delay_alu instid0(VALU_DEP_4)
	v_fmac_f32_e32 v80, -0.5, v98
	v_fmamk_f32 v60, v89, 0x3f5db3d7, v50
	v_fmamk_f32 v77, v97, 0x3f5db3d7, v79
	v_add_f32_e32 v55, v107, v104
	v_add_f32_e32 v49, v90, v96
	v_fmamk_f32 v81, v106, 0x3f5db3d7, v40
	v_fmac_f32_e32 v40, 0xbf5db3d7, v106
	v_fmac_f32_e32 v50, 0xbf5db3d7, v89
	;; [unrolled: 1-line block ×3, first 2 shown]
	v_dual_fmac_f32 v79, 0xbf5db3d7, v97 :: v_dual_fmamk_f32 v78, v101, 0xbf5db3d7, v80
	v_fmac_f32_e32 v80, 0x3f5db3d7, v101
	ds_store_2addr_b64 v190, v[42:43], v[56:57] offset1:9
	ds_store_b64 v190, v[44:45] offset:144
	ds_store_2addr_b64 v191, v[46:47], v[58:59] offset1:9
	ds_store_b64 v191, v[62:63] offset:144
	;; [unrolled: 2-line block ×5, first 2 shown]
	v_sub_nc_u16 v40, v65, v83
	v_lshlrev_b32_e32 v41, 5, v73
	global_wb scope:SCOPE_SE
	s_wait_dscnt 0x0
	s_barrier_signal -1
	s_barrier_wait -1
	v_and_b32_e32 v77, 0xff, v40
	global_inv scope:SCOPE_SE
	s_clause 0x2
	global_load_b128 v[60:63], v84, s[10:11] offset:192
	global_load_b128 v[52:55], v41, s[10:11] offset:192
	;; [unrolled: 1-line block ×3, first 2 shown]
	v_lshlrev_b32_e32 v40, 5, v77
	s_clause 0x2
	global_load_b128 v[48:51], v41, s[10:11] offset:208
	global_load_b128 v[44:47], v40, s[10:11] offset:192
	;; [unrolled: 1-line block ×3, first 2 shown]
	ds_load_2addr_b64 v[82:85], v70 offset0:122 offset1:185
	ds_load_2addr_b64 v[90:93], v66 offset0:116 offset1:179
	ds_load_2addr_b64 v[94:97], v71 offset0:124 offset1:187
	ds_load_2addr_b64 v[78:81], v175 offset0:126 offset1:189
	ds_load_2addr_b64 v[86:89], v67 offset0:120 offset1:183
	v_add_lshl_u32 v192, v75, v77, 3
	s_wait_loadcnt_dscnt 0x504
	v_mul_f32_e32 v103, v83, v63
	v_mul_f32_e32 v104, v82, v63
	s_wait_loadcnt_dscnt 0x303
	v_mul_f32_e32 v107, v91, v59
	v_mul_f32_e32 v109, v85, v55
	s_wait_dscnt 0x2
	v_mul_f32_e32 v111, v95, v53
	s_wait_loadcnt 0x2
	v_mul_f32_e32 v113, v93, v51
	v_mul_f32_e32 v114, v92, v51
	v_fma_f32 v82, v82, v62, -v103
	v_fma_f32 v103, v90, v58, -v107
	s_wait_dscnt 0x1
	v_mul_f32_e32 v77, v81, v61
	v_fma_f32 v107, v92, v50, -v113
	v_fmac_f32_e32 v104, v83, v62
	v_fma_f32 v83, v84, v54, -v109
	v_and_b32_e32 v76, 0xffff, v76
	v_fmac_f32_e32 v114, v93, v50
	v_mul_f32_e32 v110, v84, v55
	v_fma_f32 v84, v94, v52, -v111
	v_and_b32_e32 v74, 0xffff, v74
	v_mul_u32_u24_e32 v76, 0x87, v76
	v_fma_f32 v77, v80, v60, -v77
	s_wait_loadcnt_dscnt 0x100
	v_mul_f32_e32 v119, v87, v47
	v_mul_f32_e32 v105, v89, v57
	v_mul_u32_u24_e32 v74, 0x87, v74
	v_add_lshl_u32 v193, v76, v73, 3
	v_sub_f32_e32 v92, v82, v77
	v_dual_mul_f32 v120, v86, v47 :: v_dual_mul_f32 v117, v97, v45
	s_delay_alu instid0(VALU_DEP_4)
	v_add_lshl_u32 v194, v74, v72, 3
	ds_load_2addr_b64 v[71:74], v175 offset1:63
	ds_load_2addr_b64 v[98:101], v69 offset0:118 offset1:181
	ds_load_b64 v[75:76], v175 offset:7056
	v_fma_f32 v86, v86, v46, -v119
	v_fmac_f32_e32 v120, v87, v46
	v_mul_f32_e32 v112, v94, v53
	v_mul_f32_e32 v102, v80, v61
	v_add_f32_e32 v125, v84, v107
	global_wb scope:SCOPE_SE
	s_wait_loadcnt_dscnt 0x0
	s_barrier_signal -1
	s_barrier_wait -1
	global_inv scope:SCOPE_SE
	v_mul_f32_e32 v115, v99, v49
	v_mul_f32_e32 v121, v101, v41
	;; [unrolled: 1-line block ×3, first 2 shown]
	s_delay_alu instid0(VALU_DEP_3) | instskip(SKIP_2) | instid1(VALU_DEP_4)
	v_fma_f32 v87, v98, v48, -v115
	v_mul_f32_e32 v106, v88, v57
	v_mul_f32_e32 v116, v98, v49
	v_fma_f32 v98, v75, v42, -v123
	s_delay_alu instid0(VALU_DEP_4) | instskip(NEXT) | instid1(VALU_DEP_4)
	v_dual_mul_f32 v118, v96, v45 :: v_dual_sub_f32 v123, v87, v107
	v_dual_sub_f32 v119, v83, v87 :: v_dual_fmac_f32 v106, v89, v56
	v_fma_f32 v89, v100, v40, -v121
	v_sub_f32_e32 v121, v107, v87
	v_dual_fmac_f32 v116, v99, v48 :: v_dual_sub_f32 v115, v84, v83
	s_delay_alu instid0(VALU_DEP_3) | instskip(SKIP_1) | instid1(VALU_DEP_3)
	v_dual_fmac_f32 v118, v97, v44 :: v_dual_sub_f32 v139, v98, v89
	v_add_f32_e32 v135, v86, v89
	v_sub_f32_e32 v131, v114, v116
	s_delay_alu instid0(VALU_DEP_4)
	v_dual_add_f32 v115, v115, v121 :: v_dual_fmac_f32 v110, v85, v54
	v_fma_f32 v85, v96, v44, -v117
	v_mul_f32_e32 v124, v75, v43
	v_mul_f32_e32 v108, v90, v59
	v_fma_f32 v88, v88, v56, -v105
	v_sub_f32_e32 v117, v83, v84
	v_sub_f32_e32 v173, v85, v98
	v_dual_add_f32 v133, v78, v85 :: v_dual_fmac_f32 v124, v76, v42
	v_sub_f32_e32 v136, v85, v86
	v_fmac_f32_e32 v102, v81, v60
	v_dual_fmac_f32 v108, v91, v58 :: v_dual_sub_f32 v137, v86, v85
	s_delay_alu instid0(VALU_DEP_4) | instskip(SKIP_3) | instid1(VALU_DEP_3)
	v_sub_f32_e32 v197, v118, v124
	v_fmac_f32_e32 v112, v95, v52
	v_dual_mul_f32 v122, v100, v41 :: v_dual_sub_f32 v195, v118, v120
	v_dual_add_f32 v75, v71, v77 :: v_dual_add_f32 v76, v82, v88
	v_sub_f32_e32 v129, v110, v112
	s_delay_alu instid0(VALU_DEP_3)
	v_dual_fmac_f32 v122, v101, v40 :: v_dual_sub_f32 v105, v104, v106
	v_add_f32_e32 v101, v73, v84
	v_add_f32_e32 v113, v83, v87
	;; [unrolled: 1-line block ×4, first 2 shown]
	v_sub_f32_e32 v198, v124, v122
	v_sub_f32_e32 v81, v77, v82
	v_add_f32_e32 v91, v77, v103
	v_sub_f32_e32 v109, v82, v88
	v_sub_f32_e32 v77, v77, v103
	;; [unrolled: 1-line block ×4, first 2 shown]
	v_add_f32_e32 v97, v102, v108
	v_sub_f32_e32 v138, v86, v89
	v_add_f32_e32 v172, v85, v98
	v_dual_add_f32 v82, v75, v82 :: v_dual_add_f32 v83, v101, v83
	v_add_f32_e32 v94, v104, v106
	v_add_f32_e32 v86, v133, v86
	v_sub_f32_e32 v96, v104, v102
	v_add_f32_e32 v104, v80, v104
	v_fma_f32 v80, -0.5, v113, v73
	v_fma_f32 v73, -0.5, v125, v73
	v_add_f32_e32 v113, v117, v123
	v_fma_f32 v75, -0.5, v76, v71
	v_add_f32_e32 v125, v195, v198
	v_dual_add_f32 v85, v120, v122 :: v_dual_add_f32 v102, v74, v112
	v_fma_f32 v76, -0.5, v94, v72
	v_add_f32_e32 v94, v82, v88
	v_fmamk_f32 v82, v111, 0x3f737871, v75
	s_delay_alu instid0(VALU_DEP_4)
	v_dual_fmac_f32 v75, 0xbf737871, v111 :: v_dual_add_f32 v102, v102, v110
	v_sub_f32_e32 v127, v110, v116
	v_fma_f32 v72, -0.5, v97, v72
	v_sub_f32_e32 v128, v112, v110
	v_fma_f32 v101, -0.5, v85, v79
	v_dual_add_f32 v134, v79, v118 :: v_dual_add_f32 v97, v102, v116
	v_sub_f32_e32 v93, v88, v103
	v_sub_f32_e32 v130, v112, v114
	v_dual_sub_f32 v171, v89, v98 :: v_dual_sub_f32 v90, v103, v88
	v_fma_f32 v71, -0.5, v91, v71
	v_sub_f32_e32 v126, v84, v107
	v_dual_add_f32 v84, v110, v116 :: v_dual_fmamk_f32 v85, v109, 0x3f737871, v72
	v_add_f32_e32 v117, v128, v131
	v_dual_sub_f32 v99, v108, v106 :: v_dual_fmamk_f32 v88, v127, 0xbf737871, v73
	v_fmac_f32_e32 v73, 0x3f737871, v127
	v_dual_fmamk_f32 v91, v173, 0xbf737871, v101 :: v_dual_add_f32 v110, v134, v120
	v_dual_add_f32 v97, v97, v114 :: v_dual_sub_f32 v100, v106, v108
	s_delay_alu instid0(VALU_DEP_4)
	v_add_f32_e32 v134, v95, v99
	v_add_f32_e32 v123, v137, v171
	;; [unrolled: 1-line block ×3, first 2 shown]
	v_dual_sub_f32 v174, v120, v122 :: v_dual_fmac_f32 v75, 0xbf167918, v105
	v_fmac_f32_e32 v85, 0xbf167918, v77
	v_add_f32_e32 v99, v86, v89
	s_delay_alu instid0(VALU_DEP_4)
	v_add_f32_e32 v95, v95, v108
	v_dual_add_f32 v200, v96, v100 :: v_dual_fmac_f32 v73, 0xbf167918, v130
	v_add_f32_e32 v102, v110, v122
	v_sub_f32_e32 v196, v120, v118
	v_add_f32_e32 v120, v81, v90
	v_dual_add_f32 v96, v83, v87 :: v_dual_fmamk_f32 v83, v77, 0xbf737871, v76
	v_fma_f32 v81, -0.5, v84, v74
	v_fmamk_f32 v84, v105, 0xbf737871, v71
	v_dual_fmac_f32 v71, 0x3f737871, v105 :: v_dual_add_f32 v112, v112, v114
	v_fma_f32 v100, -0.5, v135, v78
	s_delay_alu instid0(VALU_DEP_4) | instskip(SKIP_1) | instid1(VALU_DEP_4)
	v_fmamk_f32 v87, v126, 0xbf737871, v81
	v_dual_fmac_f32 v81, 0x3f737871, v126 :: v_dual_add_f32 v118, v118, v124
	v_dual_fmac_f32 v74, -0.5, v112 :: v_dual_fmac_f32 v91, 0xbf167918, v138
	v_fmac_f32_e32 v72, 0xbf737871, v109
	s_delay_alu instid0(VALU_DEP_3) | instskip(SKIP_1) | instid1(VALU_DEP_4)
	v_dual_fmac_f32 v76, 0x3f737871, v77 :: v_dual_fmac_f32 v79, -0.5, v118
	v_dual_add_f32 v133, v92, v93 :: v_dual_fmamk_f32 v86, v130, 0x3f737871, v80
	v_dual_sub_f32 v132, v116, v114 :: v_dual_fmamk_f32 v89, v119, 0x3f737871, v74
	s_delay_alu instid0(VALU_DEP_3)
	v_fmamk_f32 v93, v138, 0x3f737871, v79
	v_fma_f32 v78, -0.5, v172, v78
	v_dual_fmac_f32 v74, 0xbf737871, v119 :: v_dual_sub_f32 v199, v122, v124
	v_fmac_f32_e32 v80, 0xbf737871, v130
	v_fmamk_f32 v90, v197, 0x3f737871, v100
	v_fmac_f32_e32 v100, 0xbf737871, v197
	v_fmamk_f32 v92, v174, 0xbf737871, v78
	v_dual_fmac_f32 v78, 0x3f737871, v174 :: v_dual_fmac_f32 v101, 0x3f737871, v173
	v_fmac_f32_e32 v79, 0xbf737871, v138
	v_fmac_f32_e32 v82, 0x3f167918, v105
	;; [unrolled: 1-line block ×8, first 2 shown]
	v_dual_fmac_f32 v87, 0xbf167918, v119 :: v_dual_add_f32 v112, v129, v132
	v_fmac_f32_e32 v101, 0x3f167918, v138
	v_fmac_f32_e32 v88, 0x3f167918, v130
	;; [unrolled: 1-line block ×4, first 2 shown]
	v_dual_add_f32 v98, v99, v98 :: v_dual_fmac_f32 v73, 0x3e9e377a, v113
	v_fmac_f32_e32 v80, 0xbf167918, v127
	v_dual_fmac_f32 v81, 0x3f167918, v119 :: v_dual_fmac_f32 v90, 0x3f167918, v174
	v_fmac_f32_e32 v100, 0xbf167918, v174
	v_fmac_f32_e32 v92, 0x3f167918, v197
	;; [unrolled: 1-line block ×4, first 2 shown]
	v_dual_fmac_f32 v79, 0x3f167918, v173 :: v_dual_add_f32 v94, v94, v103
	v_dual_fmac_f32 v83, 0x3e9e377a, v134 :: v_dual_fmac_f32 v82, 0x3e9e377a, v120
	v_fmac_f32_e32 v87, 0x3e9e377a, v117
	v_fmac_f32_e32 v71, 0x3e9e377a, v133
	v_dual_add_f32 v99, v102, v124 :: v_dual_add_f32 v118, v196, v199
	v_dual_fmac_f32 v75, 0x3e9e377a, v120 :: v_dual_add_f32 v96, v96, v107
	v_dual_fmac_f32 v85, 0x3e9e377a, v200 :: v_dual_fmac_f32 v84, 0x3e9e377a, v133
	v_fmac_f32_e32 v89, 0x3e9e377a, v112
	v_dual_fmac_f32 v72, 0x3e9e377a, v200 :: v_dual_fmac_f32 v91, 0x3e9e377a, v125
	v_dual_fmac_f32 v76, 0x3e9e377a, v134 :: v_dual_fmac_f32 v81, 0x3e9e377a, v117
	;; [unrolled: 1-line block ×4, first 2 shown]
	v_fmac_f32_e32 v74, 0x3e9e377a, v112
	v_dual_fmac_f32 v80, 0x3e9e377a, v115 :: v_dual_fmac_f32 v93, 0x3e9e377a, v118
	v_fmac_f32_e32 v90, 0x3e9e377a, v121
	v_fmac_f32_e32 v100, 0x3e9e377a, v121
	;; [unrolled: 1-line block ×4, first 2 shown]
	ds_store_2addr_b64 v194, v[94:95], v[82:83] offset1:27
	ds_store_2addr_b64 v194, v[84:85], v[71:72] offset0:54 offset1:81
	ds_store_b64 v194, v[75:76] offset:864
	ds_store_2addr_b64 v193, v[96:97], v[86:87] offset1:27
	ds_store_2addr_b64 v193, v[88:89], v[73:74] offset0:54 offset1:81
	ds_store_b64 v193, v[80:81] offset:864
	;; [unrolled: 3-line block ×3, first 2 shown]
	global_wb scope:SCOPE_SE
	s_wait_dscnt 0x0
	s_barrier_signal -1
	s_barrier_wait -1
	global_inv scope:SCOPE_SE
	ds_load_2addr_b64 v[104:107], v175 offset1:63
	ds_load_2addr_b64 v[116:119], v175 offset0:135 offset1:198
	ds_load_2addr_b64 v[120:123], v70 offset0:14 offset1:77
	;; [unrolled: 1-line block ×6, first 2 shown]
	v_add_co_u32 v171, s0, s8, v175
	s_wait_alu 0xf1ff
	v_add_co_ci_u32_e64 v172, null, s9, 0, s0
                                        ; implicit-def: $vgpr110
                                        ; implicit-def: $vgpr114
                                        ; implicit-def: $vgpr173
	s_and_saveexec_b32 s0, vcc_lo
	s_cbranch_execz .LBB0_3
; %bb.2:
	v_add_nc_u32_e32 v64, 0x200, v175
	ds_load_2addr_b64 v[108:111], v67 offset0:12 offset1:147
	ds_load_2addr_b64 v[112:115], v66 offset0:26 offset1:161
	;; [unrolled: 1-line block ×3, first 2 shown]
	ds_load_b64 v[173:174], v175 offset:7488
.LBB0_3:
	s_wait_alu 0xfffe
	s_or_b32 exec_lo, exec_lo, s0
	v_mad_co_u64_u32 v[66:67], null, v176, 48, s[10:11]
	s_clause 0x5
	global_load_b128 v[96:99], v[66:67], off offset:1056
	global_load_b128 v[88:91], v[66:67], off offset:1072
	;; [unrolled: 1-line block ×6, first 2 shown]
	s_wait_loadcnt_dscnt 0x505
	v_dual_mul_f32 v195, v117, v97 :: v_dual_add_nc_u32 v64, -9, v176
	s_wait_dscnt 0x4
	s_delay_alu instid0(VALU_DEP_1) | instskip(SKIP_3) | instid1(VALU_DEP_3)
	v_dual_cndmask_b32 v64, v64, v65 :: v_dual_mul_f32 v197, v121, v99
	s_wait_loadcnt_dscnt 0x402
	v_dual_mul_f32 v196, v116, v97 :: v_dual_mul_f32 v201, v129, v91
	v_dual_mul_f32 v198, v120, v99 :: v_dual_mul_f32 v199, v125, v89
	v_mul_i32_i24_e32 v65, 48, v64
	v_mul_hi_i32_i24_e32 v64, 48, v64
	s_wait_loadcnt_dscnt 0x300
	v_dual_mul_f32 v200, v124, v89 :: v_dual_mul_f32 v205, v137, v79
	v_dual_mul_f32 v202, v128, v91 :: v_dual_mul_f32 v203, v133, v77
	v_add_co_u32 v72, s0, s10, v65
	s_wait_alu 0xf1ff
	v_add_co_ci_u32_e64 v73, s0, s11, v64, s0
	s_clause 0x2
	global_load_b128 v[68:71], v[72:73], off offset:1056
	global_load_b128 v[64:67], v[72:73], off offset:1072
	;; [unrolled: 1-line block ×3, first 2 shown]
	s_wait_loadcnt 0x5
	v_dual_mul_f32 v204, v132, v77 :: v_dual_mul_f32 v209, v123, v95
	s_wait_loadcnt 0x4
	v_dual_mul_f32 v208, v118, v93 :: v_dual_mul_f32 v213, v131, v87
	;; [unrolled: 2-line block ×3, first 2 shown]
	v_dual_mul_f32 v214, v130, v87 :: v_dual_mul_f32 v215, v135, v81
	v_dual_mul_f32 v206, v136, v79 :: v_dual_mul_f32 v207, v119, v93
	v_dual_mul_f32 v210, v122, v95 :: v_dual_mul_f32 v211, v127, v85
	s_delay_alu instid0(VALU_DEP_4) | instskip(NEXT) | instid1(VALU_DEP_4)
	v_fmac_f32_e32 v212, v127, v84
	v_fmac_f32_e32 v214, v131, v86
	;; [unrolled: 1-line block ×7, first 2 shown]
	v_fma_f32 v117, v120, v98, -v197
	v_fma_f32 v120, v124, v88, -v199
	;; [unrolled: 1-line block ×3, first 2 shown]
	v_add_f32_e32 v133, v200, v202
	v_fmac_f32_e32 v210, v123, v94
	v_fma_f32 v123, v130, v86, -v213
	v_fma_f32 v116, v116, v96, -v195
	v_add_f32_e32 v130, v117, v124
	v_sub_f32_e32 v117, v117, v124
	v_fmac_f32_e32 v206, v137, v78
	v_mul_f32_e32 v216, v134, v81
	v_fma_f32 v125, v136, v78, -v205
	v_fma_f32 v119, v122, v94, -v209
	;; [unrolled: 1-line block ×3, first 2 shown]
	s_delay_alu instid0(VALU_DEP_4)
	v_dual_add_f32 v129, v196, v206 :: v_dual_fmac_f32 v216, v135, v80
	v_fma_f32 v126, v134, v80, -v215
	v_fmac_f32_e32 v198, v121, v98
	v_fma_f32 v121, v128, v90, -v201
	v_fma_f32 v118, v118, v92, -v207
	;; [unrolled: 1-line block ×3, first 2 shown]
	v_add_f32_e32 v128, v116, v125
	v_add_f32_e32 v136, v119, v126
	s_delay_alu instid0(VALU_DEP_3)
	v_dual_sub_f32 v119, v119, v126 :: v_dual_add_f32 v134, v118, v127
	s_wait_loadcnt 0x2
	v_mul_f32_e32 v195, v103, v69
	v_dual_sub_f32 v116, v116, v125 :: v_dual_add_f32 v207, v130, v128
	s_wait_loadcnt 0x0
	v_mul_f32_e32 v205, v174, v75
	v_add_f32_e32 v137, v210, v216
	v_dual_mul_f32 v218, v138, v83 :: v_dual_sub_f32 v125, v196, v206
	v_mul_f32_e32 v197, v109, v71
	v_dual_mul_f32 v201, v113, v67 :: v_dual_add_f32 v132, v120, v121
	s_delay_alu instid0(VALU_DEP_3)
	v_dual_sub_f32 v209, v130, v128 :: v_dual_fmac_f32 v218, v139, v82
	v_dual_sub_f32 v120, v121, v120 :: v_dual_mul_f32 v203, v115, v73
	v_sub_f32_e32 v118, v118, v127
	v_dual_add_f32 v138, v122, v123 :: v_dual_add_f32 v139, v212, v214
	v_dual_sub_f32 v122, v123, v122 :: v_dual_sub_f32 v123, v214, v212
	v_add_f32_e32 v135, v208, v218
	v_sub_f32_e32 v121, v202, v200
	v_sub_f32_e32 v127, v208, v218
	v_add_f32_e32 v131, v198, v204
	v_dual_sub_f32 v124, v198, v204 :: v_dual_mul_f32 v199, v111, v65
	v_dual_sub_f32 v126, v210, v216 :: v_dual_sub_f32 v213, v120, v117
	v_mul_f32_e32 v204, v114, v73
	v_add_f32_e32 v211, v120, v117
	v_dual_sub_f32 v117, v117, v116 :: v_dual_add_f32 v208, v131, v129
	v_dual_add_f32 v219, v122, v119 :: v_dual_sub_f32 v210, v131, v129
	v_sub_f32_e32 v221, v122, v119
	v_sub_f32_e32 v129, v129, v133
	v_dual_sub_f32 v131, v133, v131 :: v_dual_mul_f32 v196, v102, v69
	v_dual_add_f32 v215, v136, v134 :: v_dual_mul_f32 v200, v110, v65
	v_dual_sub_f32 v217, v136, v134 :: v_dual_add_f32 v212, v121, v124
	v_mul_f32_e32 v206, v173, v75
	v_mul_f32_e32 v198, v108, v71
	v_dual_mul_f32 v202, v112, v67 :: v_dual_sub_f32 v119, v119, v118
	v_sub_f32_e32 v214, v121, v124
	v_sub_f32_e32 v121, v125, v121
	v_add_f32_e32 v216, v137, v135
	v_sub_f32_e32 v136, v138, v136
	v_sub_f32_e32 v218, v137, v135
	;; [unrolled: 1-line block ×4, first 2 shown]
	v_add_f32_e32 v220, v123, v126
	v_sub_f32_e32 v222, v123, v126
	v_fma_f32 v102, v102, v68, -v195
	v_fmac_f32_e32 v196, v103, v68
	v_fma_f32 v103, v108, v70, -v197
	v_fma_f32 v108, v110, v64, -v199
	v_fmac_f32_e32 v200, v111, v64
	v_fma_f32 v110, v114, v72, -v203
	v_fmac_f32_e32 v204, v115, v72
	v_fma_f32 v111, v173, v74, -v205
	v_add_f32_e32 v115, v212, v125
	v_mul_f32_e32 v173, 0x3f5ff5aa, v117
	v_dual_sub_f32 v124, v124, v125 :: v_dual_add_f32 v139, v139, v216
	v_dual_mul_f32 v125, 0x3f4a47b2, v129 :: v_dual_fmac_f32 v206, v174, v74
	v_dual_mul_f32 v199, 0xbf08b237, v221 :: v_dual_sub_f32 v126, v126, v127
	v_dual_sub_f32 v128, v128, v132 :: v_dual_sub_f32 v123, v127, v123
	v_sub_f32_e32 v130, v132, v130
	v_fmac_f32_e32 v198, v109, v70
	v_fma_f32 v109, v112, v66, -v201
	v_add_f32_e32 v112, v132, v207
	v_mul_f32_e32 v129, 0x3d64c772, v131
	v_mul_f32_e32 v201, 0xbf08b237, v222
	;; [unrolled: 1-line block ×3, first 2 shown]
	v_dual_add_f32 v207, v102, v111 :: v_dual_fmac_f32 v202, v113, v66
	v_add_f32_e32 v113, v133, v208
	v_dual_fmamk_f32 v131, v131, 0x3d64c772, v125 :: v_dual_add_f32 v208, v196, v206
	v_sub_f32_e32 v196, v196, v206
	v_add_f32_e32 v206, v103, v110
	v_mul_f32_e32 v132, 0xbf08b237, v213
	v_dual_sub_f32 v120, v116, v120 :: v_dual_mul_f32 v133, 0xbf08b237, v214
	v_dual_mul_f32 v135, 0x3f4a47b2, v135 :: v_dual_add_f32 v114, v211, v116
	v_mul_f32_e32 v195, 0x3d64c772, v136
	v_dual_mul_f32 v197, 0x3d64c772, v137 :: v_dual_sub_f32 v134, v134, v138
	v_add_f32_e32 v127, v220, v127
	v_add_f32_e32 v138, v138, v215
	v_dual_sub_f32 v111, v102, v111 :: v_dual_sub_f32 v110, v103, v110
	v_add_f32_e32 v103, v105, v113
	v_dual_add_f32 v211, v198, v204 :: v_dual_add_f32 v212, v200, v202
	v_fma_f32 v117, 0x3f5ff5aa, v117, -v132
	v_dual_mul_f32 v116, 0x3f4a47b2, v128 :: v_dual_add_f32 v105, v107, v139
	v_dual_fmamk_f32 v107, v137, 0x3d64c772, v135 :: v_dual_sub_f32 v198, v198, v204
	s_delay_alu instid0(VALU_DEP_3)
	v_dual_fmac_f32 v117, 0x3ee1c552, v114 :: v_dual_add_f32 v204, v108, v109
	v_sub_f32_e32 v108, v109, v108
	v_sub_f32_e32 v109, v202, v200
	v_dual_add_f32 v102, v104, v112 :: v_dual_fmamk_f32 v137, v123, 0x3eae86e6, v201
	v_dual_add_f32 v104, v106, v138 :: v_dual_fmamk_f32 v113, v113, 0xbf955555, v103
	v_fmamk_f32 v200, v120, 0x3eae86e6, v132
	v_fma_f32 v120, 0xbeae86e6, v120, -v173
	v_fma_f32 v132, 0x3f3bfb3b, v217, -v195
	;; [unrolled: 1-line block ×3, first 2 shown]
	v_add_f32_e32 v131, v131, v113
	v_dual_sub_f32 v205, v212, v211 :: v_dual_mul_f32 v174, 0x3f5ff5aa, v124
	v_dual_sub_f32 v122, v118, v122 :: v_dual_mul_f32 v203, 0x3f5ff5aa, v119
	v_mul_f32_e32 v134, 0x3f4a47b2, v134
	v_fma_f32 v135, 0xbf3bfb3b, v218, -v135
	v_fmac_f32_e32 v200, 0x3ee1c552, v114
	v_dual_fmac_f32 v120, 0x3ee1c552, v114 :: v_dual_fmac_f32 v137, 0x3ee1c552, v127
	v_fmamk_f32 v114, v138, 0xbf955555, v104
	v_fmamk_f32 v202, v121, 0x3eae86e6, v133
	v_fma_f32 v121, 0xbeae86e6, v121, -v174
	v_mul_f32_e32 v128, 0x3d64c772, v130
	v_fma_f32 v129, 0x3f3bfb3b, v210, -v129
	v_fma_f32 v125, 0xbf3bfb3b, v210, -v125
	;; [unrolled: 1-line block ×5, first 2 shown]
	v_add_f32_e32 v119, v206, v207
	v_fma_f32 v174, 0xbeae86e6, v122, -v203
	v_sub_f32_e32 v123, v206, v207
	v_dual_sub_f32 v197, v211, v208 :: v_dual_fmamk_f32 v106, v136, 0x3d64c772, v134
	v_dual_fmamk_f32 v136, v122, 0x3eae86e6, v199 :: v_dual_add_f32 v129, v129, v113
	v_sub_f32_e32 v199, v207, v204
	v_add_f32_e32 v207, v109, v198
	v_sub_f32_e32 v203, v204, v206
	v_dual_fmac_f32 v121, 0x3ee1c552, v115 :: v_dual_add_f32 v118, v219, v118
	v_fma_f32 v128, 0x3f3bfb3b, v209, -v128
	v_fma_f32 v126, 0x3f5ff5aa, v126, -v201
	v_sub_f32_e32 v201, v208, v212
	s_delay_alu instid0(VALU_DEP_4)
	v_dual_add_f32 v122, v211, v208 :: v_dual_fmac_f32 v173, 0x3ee1c552, v118
	v_fmamk_f32 v130, v130, 0x3d64c772, v116
	v_fma_f32 v116, 0xbf3bfb3b, v209, -v116
	v_sub_f32_e32 v209, v109, v198
	v_dual_sub_f32 v109, v196, v109 :: v_dual_sub_f32 v198, v198, v196
	v_dual_fmamk_f32 v112, v112, 0xbf955555, v102 :: v_dual_add_f32 v125, v125, v113
	v_fmac_f32_e32 v124, 0x3ee1c552, v115
	v_add_f32_e32 v138, v204, v119
	v_dual_add_f32 v196, v207, v196 :: v_dual_mul_f32 v119, 0x3d64c772, v203
	v_dual_add_f32 v207, v106, v114 :: v_dual_fmac_f32 v202, 0x3ee1c552, v115
	v_dual_fmamk_f32 v115, v139, 0xbf955555, v105 :: v_dual_add_f32 v206, v108, v110
	v_dual_fmac_f32 v195, 0x3ee1c552, v127 :: v_dual_sub_f32 v208, v108, v110
	v_sub_f32_e32 v108, v111, v108
	v_sub_f32_e32 v110, v110, v111
	v_fmac_f32_e32 v136, 0x3ee1c552, v118
	v_dual_fmac_f32 v174, 0x3ee1c552, v118 :: v_dual_add_f32 v133, v133, v115
	v_mul_f32_e32 v118, 0x3f4a47b2, v201
	v_add_f32_e32 v204, v206, v111
	v_mul_f32_e32 v111, 0x3f4a47b2, v199
	v_mul_f32_e32 v199, 0xbf08b237, v209
	v_dual_fmac_f32 v126, 0x3ee1c552, v127 :: v_dual_sub_f32 v113, v129, v117
	v_add_f32_e32 v139, v212, v122
	v_mul_f32_e32 v127, 0xbf08b237, v208
	v_mul_f32_e32 v201, 0x3f5ff5aa, v110
	v_fmamk_f32 v213, v109, 0x3eae86e6, v199
	v_fma_f32 v134, 0xbf3bfb3b, v217, -v134
	v_mul_f32_e32 v206, 0x3f5ff5aa, v198
	v_add_f32_e32 v208, v107, v115
	v_add_f32_e32 v135, v135, v115
	v_fmac_f32_e32 v213, 0x3ee1c552, v196
	v_add_f32_e32 v101, v101, v139
	v_fmamk_f32 v203, v203, 0x3d64c772, v111
	v_fma_f32 v211, 0xbf3bfb3b, v123, -v111
	v_fma_f32 v198, 0x3f5ff5aa, v198, -v199
	;; [unrolled: 1-line block ×3, first 2 shown]
	v_add_f32_e32 v111, v117, v129
	v_mul_f32_e32 v122, 0x3d64c772, v205
	v_dual_add_f32 v115, v120, v125 :: v_dual_add_f32 v130, v130, v112
	v_add_f32_e32 v116, v116, v112
	v_add_f32_e32 v117, v200, v131
	v_dual_fmamk_f32 v205, v205, 0x3d64c772, v118 :: v_dual_add_f32 v100, v100, v138
	v_fmac_f32_e32 v199, 0x3ee1c552, v204
	v_add_f32_e32 v128, v128, v112
	v_add_f32_e32 v132, v132, v114
	v_dual_add_f32 v134, v134, v114 :: v_dual_add_f32 v129, v136, v208
	v_fma_f32 v209, 0x3f3bfb3b, v123, -v119
	v_fma_f32 v214, 0x3f5ff5aa, v110, -v127
	v_sub_f32_e32 v107, v131, v200
	v_sub_f32_e32 v119, v208, v136
	v_fma_f32 v210, 0x3f3bfb3b, v197, -v122
	v_fma_f32 v197, 0xbf3bfb3b, v197, -v118
	v_add_f32_e32 v123, v173, v133
	v_fma_f32 v201, 0xbeae86e6, v109, -v206
	v_fmamk_f32 v131, v139, 0xbf955555, v101
	v_dual_fmamk_f32 v212, v108, 0x3eae86e6, v127 :: v_dual_add_f32 v127, v174, v135
	v_add_f32_e32 v108, v121, v116
	v_dual_sub_f32 v114, v116, v121 :: v_dual_sub_f32 v121, v135, v174
	v_dual_add_f32 v106, v202, v130 :: v_dual_fmac_f32 v201, 0x3ee1c552, v196
	v_sub_f32_e32 v116, v130, v202
	v_dual_fmamk_f32 v130, v138, 0xbf955555, v100 :: v_dual_sub_f32 v109, v125, v120
	v_dual_sub_f32 v125, v133, v173 :: v_dual_sub_f32 v110, v128, v124
	v_add_f32_e32 v112, v124, v128
	v_fmac_f32_e32 v214, 0x3ee1c552, v204
	v_add_f32_e32 v118, v137, v207
	v_fmac_f32_e32 v198, 0x3ee1c552, v196
	ds_store_b64 v175, v[106:107] offset:1080
	ds_store_b64 v175, v[108:109] offset:2160
	;; [unrolled: 1-line block ×6, first 2 shown]
	ds_store_2addr_b64 v175, v[102:103], v[104:105] offset1:63
	ds_store_b64 v175, v[118:119] offset:1584
	v_dual_add_f32 v112, v203, v130 :: v_dual_add_f32 v113, v205, v131
	v_fmac_f32_e32 v212, 0x3ee1c552, v204
	v_add_f32_e32 v108, v209, v130
	v_dual_add_f32 v110, v211, v130 :: v_dual_add_f32 v111, v197, v131
	v_dual_add_f32 v109, v210, v131 :: v_dual_add_f32 v120, v195, v134
	v_add_f32_e32 v124, v126, v132
	v_add_f32_e32 v102, v213, v112
	v_sub_f32_e32 v103, v113, v212
	v_dual_add_f32 v104, v201, v110 :: v_dual_sub_f32 v105, v111, v199
	v_dual_sub_f32 v106, v108, v198 :: v_dual_add_f32 v107, v214, v109
	v_dual_sub_f32 v109, v109, v214 :: v_dual_add_f32 v108, v198, v108
	;; [unrolled: 1-line block ×3, first 2 shown]
	v_sub_f32_e32 v112, v112, v213
	v_add_f32_e32 v113, v212, v113
	v_sub_f32_e32 v122, v132, v126
	v_sub_f32_e32 v126, v134, v195
	;; [unrolled: 1-line block ×3, first 2 shown]
	ds_store_b64 v175, v[120:121] offset:2664
	ds_store_b64 v175, v[122:123] offset:3744
	;; [unrolled: 1-line block ×5, first 2 shown]
	s_and_saveexec_b32 s0, vcc_lo
	s_cbranch_execz .LBB0_5
; %bb.4:
	v_add_nc_u32_e32 v114, 0x200, v175
	v_add_nc_u32_e32 v115, 0xc00, v175
	;; [unrolled: 1-line block ×3, first 2 shown]
	ds_store_2addr_b64 v114, v[100:101], v[102:103] offset0:62 offset1:197
	ds_store_2addr_b64 v115, v[104:105], v[106:107] offset0:12 offset1:147
	;; [unrolled: 1-line block ×3, first 2 shown]
	ds_store_b64 v175, v[112:113] offset:7488
.LBB0_5:
	s_wait_alu 0xfffe
	s_or_b32 exec_lo, exec_lo, s0
	global_wb scope:SCOPE_SE
	s_wait_dscnt 0x0
	s_barrier_signal -1
	s_barrier_wait -1
	global_inv scope:SCOPE_SE
	global_load_b64 v[100:101], v[171:172], off offset:7560
	v_lshlrev_b32_e32 v114, 3, v176
	s_add_nc_u64 s[0:1], s[8:9], 0x1d88
	s_clause 0xd
	global_load_b64 v[137:138], v114, s[0:1] offset:504
	global_load_b64 v[199:200], v114, s[0:1] offset:7056
	;; [unrolled: 1-line block ×14, first 2 shown]
	ds_load_2addr_b64 v[117:120], v175 offset1:63
	ds_load_b64 v[225:226], v175 offset:7056
	s_wait_loadcnt_dscnt 0xd01
	v_dual_mul_f32 v139, v119, v138 :: v_dual_add_nc_u32 v116, 0x1000, v175
	s_wait_loadcnt_dscnt 0xc00
	v_mul_f32_e32 v228, v225, v200
	v_mul_f32_e32 v227, v226, v200
	s_delay_alu instid0(VALU_DEP_2) | instskip(SKIP_4) | instid1(VALU_DEP_4)
	v_dual_fmac_f32 v139, v120, v137 :: v_dual_fmac_f32 v228, v226, v199
	v_mul_f32_e32 v114, v118, v101
	v_mul_f32_e32 v115, v117, v101
	;; [unrolled: 1-line block ×3, first 2 shown]
	v_fma_f32 v227, v225, v199, -v227
	v_fma_f32 v114, v117, v100, -v114
	v_add_nc_u32_e32 v117, 0x800, v175
	v_dual_fmac_f32 v115, v118, v100 :: v_dual_add_nc_u32 v100, 0x400, v175
	v_add_nc_u32_e32 v118, 0x1800, v175
	v_fma_f32 v138, v119, v137, -v101
	ds_store_b64 v175, v[114:115]
	v_add_nc_u32_e32 v115, 0xc00, v175
	v_add_nc_u32_e32 v114, 0x1400, v175
	ds_load_2addr_b64 v[121:124], v100 offset0:124 offset1:187
	ds_load_2addr_b64 v[125:128], v116 offset0:118 offset1:181
	;; [unrolled: 1-line block ×6, first 2 shown]
	s_wait_loadcnt_dscnt 0xa04
	v_dual_mul_f32 v101, v124, v202 :: v_dual_mul_f32 v200, v125, v204
	v_dual_mul_f32 v120, v123, v202 :: v_dual_mul_f32 v199, v126, v204
	s_wait_loadcnt_dscnt 0x803
	v_dual_mul_f32 v225, v130, v206 :: v_dual_mul_f32 v226, v128, v208
	s_wait_loadcnt_dscnt 0x301
	v_dual_mul_f32 v230, v132, v212 :: v_dual_mul_f32 v137, v195, v218
	v_mul_f32_e32 v202, v129, v206
	v_dual_mul_f32 v204, v127, v208 :: v_dual_mul_f32 v229, v134, v210
	v_mul_f32_e32 v206, v133, v210
	s_wait_dscnt 0x0
	v_dual_mul_f32 v208, v131, v212 :: v_dual_mul_f32 v231, v172, v214
	v_mul_f32_e32 v210, v171, v214
	v_dual_mul_f32 v212, v135, v216 :: v_dual_mul_f32 v233, v196, v218
	v_mul_f32_e32 v232, v136, v216
	s_wait_loadcnt 0x2
	v_mul_f32_e32 v234, v174, v220
	v_mul_f32_e32 v214, v173, v220
	s_wait_loadcnt 0x1
	v_mul_f32_e32 v220, v122, v222
	;; [unrolled: 3-line block ×3, first 2 shown]
	v_mul_f32_e32 v218, v197, v224
	v_fma_f32 v119, v123, v201, -v101
	v_fmac_f32_e32 v120, v124, v201
	v_fma_f32 v201, v129, v205, -v225
	v_fmac_f32_e32 v137, v196, v217
	v_fmac_f32_e32 v202, v130, v205
	v_fma_f32 v205, v133, v209, -v229
	v_fmac_f32_e32 v206, v134, v209
	v_fma_f32 v199, v125, v203, -v199
	;; [unrolled: 2-line block ×5, first 2 shown]
	v_fmac_f32_e32 v208, v132, v211
	v_fmac_f32_e32 v212, v136, v215
	v_fma_f32 v136, v195, v217, -v233
	v_fma_f32 v211, v135, v215, -v232
	;; [unrolled: 1-line block ×3, first 2 shown]
	v_fmac_f32_e32 v216, v122, v221
	v_fma_f32 v213, v173, v219, -v234
	v_fmac_f32_e32 v214, v174, v219
	v_fma_f32 v217, v197, v223, -v222
	v_fmac_f32_e32 v218, v198, v223
	ds_store_2addr_b64 v117, v[119:120], v[201:202] offset0:59 offset1:122
	ds_store_2addr_b64 v175, v[138:139], v[205:206] offset0:63 offset1:126
	;; [unrolled: 1-line block ×7, first 2 shown]
	global_wb scope:SCOPE_SE
	s_wait_dscnt 0x0
	s_barrier_signal -1
	s_barrier_wait -1
	global_inv scope:SCOPE_SE
	ds_load_2addr_b64 v[119:122], v175 offset1:63
	ds_load_2addr_b64 v[123:126], v100 offset0:124 offset1:187
	ds_load_2addr_b64 v[127:130], v116 offset0:118 offset1:181
	;; [unrolled: 1-line block ×6, first 2 shown]
	ds_load_b64 v[199:200], v175 offset:7056
	global_wb scope:SCOPE_SE
	s_wait_dscnt 0x0
	s_barrier_signal -1
	s_barrier_wait -1
	global_inv scope:SCOPE_SE
	v_add_f32_e32 v101, v119, v125
	v_add_f32_e32 v139, v125, v127
	v_dual_sub_f32 v207, v132, v130 :: v_dual_add_f32 v206, v131, v129
	v_add_f32_e32 v205, v121, v131
	v_sub_f32_e32 v209, v131, v129
	v_add_f32_e32 v131, v135, v133
	v_dual_sub_f32 v211, v134, v172 :: v_dual_add_f32 v210, v133, v171
	v_dual_sub_f32 v215, v196, v174 :: v_dual_add_f32 v214, v195, v173
	v_dual_add_f32 v218, v197, v199 :: v_dual_add_f32 v203, v126, v128
	v_sub_f32_e32 v213, v133, v171
	v_add_f32_e32 v133, v137, v195
	v_sub_f32_e32 v217, v195, v173
	v_dual_add_f32 v195, v123, v197 :: v_dual_add_f32 v208, v122, v132
	v_fma_f32 v121, -0.5, v206, v121
	v_dual_add_f32 v132, v132, v130 :: v_dual_sub_f32 v201, v126, v128
	v_dual_add_f32 v202, v120, v126 :: v_dual_sub_f32 v219, v198, v200
	v_add_f32_e32 v220, v124, v198
	v_add_f32_e32 v198, v198, v200
	v_fma_f32 v119, -0.5, v139, v119
	v_sub_f32_e32 v204, v125, v127
	v_add_f32_e32 v125, v101, v127
	v_add_f32_e32 v127, v205, v129
	;; [unrolled: 1-line block ×3, first 2 shown]
	v_fma_f32 v131, -0.5, v210, v135
	v_add_f32_e32 v212, v136, v134
	v_fma_f32 v137, -0.5, v214, v137
	v_add_f32_e32 v134, v134, v172
	v_fma_f32 v123, -0.5, v218, v123
	v_add_f32_e32 v216, v138, v196
	v_add_f32_e32 v196, v196, v174
	v_fma_f32 v120, -0.5, v203, v120
	v_add_f32_e32 v133, v133, v173
	v_dual_fmamk_f32 v173, v207, 0xbf5db3d7, v121 :: v_dual_fmac_f32 v122, -0.5, v132
	v_sub_f32_e32 v221, v197, v199
	v_dual_add_f32 v135, v195, v199 :: v_dual_fmac_f32 v124, -0.5, v198
	v_fmamk_f32 v197, v215, 0xbf5db3d7, v137
	v_fma_f32 v132, -0.5, v134, v136
	v_fmamk_f32 v199, v219, 0xbf5db3d7, v123
	v_dual_fmac_f32 v123, 0x3f5db3d7, v219 :: v_dual_fmac_f32 v138, -0.5, v196
	v_add_f32_e32 v126, v202, v128
	v_dual_add_f32 v128, v208, v130 :: v_dual_fmamk_f32 v171, v201, 0xbf5db3d7, v119
	v_fmac_f32_e32 v119, 0x3f5db3d7, v201
	v_fmamk_f32 v195, v211, 0xbf5db3d7, v131
	v_dual_fmac_f32 v131, 0x3f5db3d7, v211 :: v_dual_add_f32 v130, v212, v172
	v_fmamk_f32 v172, v204, 0x3f5db3d7, v120
	v_fmac_f32_e32 v120, 0xbf5db3d7, v204
	v_add_f32_e32 v134, v216, v174
	v_dual_fmamk_f32 v174, v209, 0x3f5db3d7, v122 :: v_dual_fmac_f32 v121, 0x3f5db3d7, v207
	v_fmac_f32_e32 v122, 0xbf5db3d7, v209
	v_add_f32_e32 v136, v220, v200
	v_fmamk_f32 v196, v213, 0x3f5db3d7, v132
	v_fmac_f32_e32 v132, 0xbf5db3d7, v213
	v_dual_fmac_f32 v137, 0x3f5db3d7, v215 :: v_dual_fmamk_f32 v198, v217, 0x3f5db3d7, v138
	v_fmac_f32_e32 v138, 0xbf5db3d7, v217
	v_fmamk_f32 v200, v221, 0x3f5db3d7, v124
	v_fmac_f32_e32 v124, 0xbf5db3d7, v221
	ds_store_2addr_b64 v177, v[125:126], v[171:172] offset1:1
	ds_store_b64 v177, v[119:120] offset:16
	ds_store_2addr_b64 v181, v[127:128], v[173:174] offset1:1
	ds_store_b64 v181, v[121:122] offset:16
	ds_store_2addr_b64 v180, v[129:130], v[195:196] offset1:1
	ds_store_b64 v180, v[131:132] offset:16
	ds_store_2addr_b64 v179, v[133:134], v[197:198] offset1:1
	ds_store_b64 v179, v[137:138] offset:16
	ds_store_2addr_b64 v178, v[135:136], v[199:200] offset1:1
	ds_store_b64 v178, v[123:124] offset:16
	global_wb scope:SCOPE_SE
	s_wait_dscnt 0x0
	s_barrier_signal -1
	s_barrier_wait -1
	global_inv scope:SCOPE_SE
	ds_load_2addr_b64 v[119:122], v100 offset0:124 offset1:187
	ds_load_2addr_b64 v[123:126], v116 offset0:118 offset1:181
	;; [unrolled: 1-line block ×5, first 2 shown]
	ds_load_2addr_b64 v[171:174], v175 offset1:63
	ds_load_2addr_b64 v[177:180], v175 offset0:126 offset1:189
	ds_load_b64 v[195:196], v175 offset:7056
	global_wb scope:SCOPE_SE
	s_wait_dscnt 0x0
	s_barrier_signal -1
	s_barrier_wait -1
	global_inv scope:SCOPE_SE
	v_mul_f32_e32 v101, v13, v122
	v_mul_f32_e32 v13, v13, v121
	;; [unrolled: 1-line block ×10, first 2 shown]
	v_dual_mul_f32 v11, v11, v131 :: v_dual_mul_f32 v200, v5, v136
	v_mul_f32_e32 v5, v5, v135
	s_delay_alu instid0(VALU_DEP_4)
	v_fmac_f32_e32 v203, v2, v195
	v_mul_f32_e32 v201, v7, v134
	v_mul_f32_e32 v198, v9, v130
	;; [unrolled: 1-line block ×5, first 2 shown]
	v_fmac_f32_e32 v201, v6, v133
	v_dual_fmac_f32 v101, v12, v121 :: v_dual_mul_f32 v202, v1, v138
	v_dual_mul_f32 v1, v1, v137 :: v_dual_fmac_f32 v200, v4, v135
	v_fma_f32 v12, v12, v122, -v13
	v_fmac_f32_e32 v139, v14, v123
	v_fma_f32 v13, v14, v124, -v15
	v_fma_f32 v14, v16, v128, -v17
	;; [unrolled: 1-line block ×3, first 2 shown]
	v_fmac_f32_e32 v181, v16, v127
	v_fmac_f32_e32 v197, v18, v125
	;; [unrolled: 1-line block ×3, first 2 shown]
	v_fma_f32 v8, v8, v130, -v9
	v_sub_f32_e32 v19, v14, v15
	v_fmac_f32_e32 v199, v10, v131
	v_fma_f32 v9, v10, v132, -v11
	v_fma_f32 v4, v4, v136, -v5
	;; [unrolled: 1-line block ×3, first 2 shown]
	s_delay_alu instid0(VALU_DEP_4)
	v_dual_fmac_f32 v202, v0, v137 :: v_dual_add_f32 v121, v198, v199
	v_fma_f32 v0, v0, v138, -v1
	v_fma_f32 v16, v2, v196, -v3
	v_dual_add_f32 v1, v171, v101 :: v_dual_add_f32 v2, v101, v139
	v_sub_f32_e32 v17, v12, v13
	v_dual_add_f32 v3, v172, v12 :: v_dual_sub_f32 v18, v101, v139
	v_dual_add_f32 v5, v12, v13 :: v_dual_add_f32 v10, v174, v14
	v_dual_add_f32 v7, v181, v197 :: v_dual_add_f32 v12, v14, v15
	;; [unrolled: 1-line block ×3, first 2 shown]
	v_dual_sub_f32 v122, v8, v9 :: v_dual_add_f32 v133, v202, v203
	v_dual_add_f32 v124, v8, v9 :: v_dual_sub_f32 v137, v202, v203
	v_dual_add_f32 v127, v200, v201 :: v_dual_add_f32 v132, v119, v202
	v_add_f32_e32 v129, v180, v4
	v_add_f32_e32 v130, v4, v11
	;; [unrolled: 1-line block ×3, first 2 shown]
	v_dual_add_f32 v14, v177, v198 :: v_dual_sub_f32 v125, v198, v199
	v_sub_f32_e32 v128, v4, v11
	v_sub_f32_e32 v134, v0, v16
	v_dual_add_f32 v135, v120, v0 :: v_dual_add_f32 v4, v6, v197
	v_add_f32_e32 v0, v1, v139
	v_fma_f32 v2, -0.5, v2, v171
	v_add_f32_e32 v1, v3, v13
	v_fma_f32 v3, -0.5, v5, v172
	v_dual_sub_f32 v101, v181, v197 :: v_dual_add_f32 v126, v179, v200
	v_dual_sub_f32 v131, v200, v201 :: v_dual_fmac_f32 v174, -0.5, v12
	v_fma_f32 v173, -0.5, v7, v173
	v_fma_f32 v8, -0.5, v121, v177
	v_add_f32_e32 v7, v123, v9
	v_fma_f32 v9, -0.5, v124, v178
	v_fma_f32 v179, -0.5, v127, v179
	v_dual_add_f32 v11, v129, v11 :: v_dual_fmac_f32 v180, -0.5, v130
	v_fma_f32 v119, -0.5, v133, v119
	v_dual_fmac_f32 v120, -0.5, v136 :: v_dual_add_f32 v5, v10, v15
	v_dual_add_f32 v6, v14, v199 :: v_dual_add_f32 v13, v135, v16
	v_fmamk_f32 v14, v17, 0xbf5db3d7, v2
	v_fmamk_f32 v15, v18, 0x3f5db3d7, v3
	v_dual_add_f32 v10, v126, v201 :: v_dual_fmac_f32 v3, 0xbf5db3d7, v18
	v_fmac_f32_e32 v2, 0x3f5db3d7, v17
	v_dual_add_f32 v12, v132, v203 :: v_dual_fmamk_f32 v17, v101, 0x3f5db3d7, v174
	v_fmamk_f32 v16, v19, 0xbf5db3d7, v173
	v_fmac_f32_e32 v173, 0x3f5db3d7, v19
	v_dual_fmac_f32 v174, 0xbf5db3d7, v101 :: v_dual_fmamk_f32 v121, v128, 0xbf5db3d7, v179
	v_fmamk_f32 v18, v122, 0xbf5db3d7, v8
	v_dual_fmac_f32 v8, 0x3f5db3d7, v122 :: v_dual_fmac_f32 v179, 0x3f5db3d7, v128
	v_fmamk_f32 v19, v125, 0x3f5db3d7, v9
	v_fmac_f32_e32 v9, 0xbf5db3d7, v125
	v_fmamk_f32 v122, v131, 0x3f5db3d7, v180
	v_dual_fmac_f32 v180, 0xbf5db3d7, v131 :: v_dual_fmamk_f32 v123, v134, 0xbf5db3d7, v119
	v_dual_fmac_f32 v119, 0x3f5db3d7, v134 :: v_dual_fmamk_f32 v124, v137, 0x3f5db3d7, v120
	v_fmac_f32_e32 v120, 0xbf5db3d7, v137
	ds_store_2addr_b64 v184, v[0:1], v[14:15] offset1:3
	ds_store_b64 v184, v[2:3] offset:48
	ds_store_2addr_b64 v186, v[4:5], v[16:17] offset1:3
	ds_store_b64 v186, v[173:174] offset:48
	;; [unrolled: 2-line block ×5, first 2 shown]
	global_wb scope:SCOPE_SE
	s_wait_dscnt 0x0
	s_barrier_signal -1
	s_barrier_wait -1
	global_inv scope:SCOPE_SE
	ds_load_2addr_b64 v[0:3], v100 offset0:124 offset1:187
	ds_load_2addr_b64 v[4:7], v116 offset0:118 offset1:181
	ds_load_2addr_b64 v[8:11], v117 offset0:122 offset1:185
	ds_load_2addr_b64 v[12:15], v114 offset0:116 offset1:179
	ds_load_2addr_b64 v[16:19], v115 offset0:120 offset1:183
	ds_load_2addr_b64 v[119:122], v175 offset1:63
	ds_load_2addr_b64 v[123:126], v175 offset0:126 offset1:189
	ds_load_b64 v[127:128], v175 offset:7056
	global_wb scope:SCOPE_SE
	s_wait_dscnt 0x0
	s_barrier_signal -1
	s_barrier_wait -1
	global_inv scope:SCOPE_SE
	v_mul_f32_e32 v101, v33, v3
	v_dual_mul_f32 v131, v39, v7 :: v_dual_mul_f32 v130, v37, v9
	v_dual_mul_f32 v39, v39, v6 :: v_dual_mul_f32 v132, v29, v11
	v_mul_f32_e32 v33, v33, v2
	v_mul_f32_e32 v129, v35, v5
	;; [unrolled: 1-line block ×3, first 2 shown]
	s_delay_alu instid0(VALU_DEP_4)
	v_dual_mul_f32 v37, v37, v8 :: v_dual_fmac_f32 v132, v28, v10
	v_dual_mul_f32 v29, v29, v10 :: v_dual_fmac_f32 v130, v36, v8
	v_dual_mul_f32 v133, v31, v13 :: v_dual_mul_f32 v136, v21, v19
	v_dual_mul_f32 v31, v31, v12 :: v_dual_mul_f32 v134, v25, v17
	v_mul_f32_e32 v25, v25, v16
	v_mul_f32_e32 v135, v27, v15
	v_fmac_f32_e32 v101, v32, v2
	v_fma_f32 v2, v32, v3, -v33
	v_mul_f32_e32 v137, v23, v128
	v_fmac_f32_e32 v129, v34, v4
	v_fma_f32 v3, v34, v5, -v35
	v_mul_f32_e32 v27, v27, v14
	v_fma_f32 v4, v36, v9, -v37
	v_fma_f32 v7, v38, v7, -v39
	v_dual_fmac_f32 v131, v38, v6 :: v_dual_fmac_f32 v134, v24, v16
	v_fmac_f32_e32 v136, v20, v18
	v_fma_f32 v6, v24, v17, -v25
	v_add_f32_e32 v16, v121, v130
	v_dual_add_f32 v24, v123, v132 :: v_dual_mul_f32 v21, v21, v18
	v_add_f32_e32 v10, v119, v101
	v_dual_mul_f32 v23, v23, v127 :: v_dual_sub_f32 v18, v101, v129
	v_fma_f32 v5, v28, v11, -v29
	v_fmac_f32_e32 v133, v30, v12
	v_fma_f32 v9, v30, v13, -v31
	v_fmac_f32_e32 v135, v26, v14
	v_fma_f32 v8, v20, v19, -v21
	v_dual_add_f32 v11, v101, v129 :: v_dual_add_f32 v36, v0, v136
	v_dual_add_f32 v12, v120, v2 :: v_dual_fmac_f32 v137, v22, v127
	v_add_f32_e32 v28, v5, v9
	v_add_f32_e32 v14, v2, v3
	v_fma_f32 v13, v26, v15, -v27
	v_fma_f32 v15, v22, v128, -v23
	v_add_f32_e32 v22, v4, v7
	v_sub_f32_e32 v20, v4, v7
	v_add_f32_e32 v19, v130, v131
	v_dual_sub_f32 v17, v2, v3 :: v_dual_add_f32 v30, v125, v134
	v_dual_add_f32 v21, v122, v4 :: v_dual_sub_f32 v38, v8, v15
	v_dual_sub_f32 v23, v130, v131 :: v_dual_sub_f32 v26, v5, v9
	v_add_f32_e32 v25, v132, v133
	v_add_f32_e32 v31, v134, v135
	v_dual_sub_f32 v32, v6, v13 :: v_dual_add_f32 v39, v1, v8
	v_dual_add_f32 v34, v6, v13 :: v_dual_add_f32 v101, v8, v15
	v_fma_f32 v4, -0.5, v11, v119
	v_fmac_f32_e32 v122, -0.5, v22
	v_add_f32_e32 v8, v24, v133
	v_add_f32_e32 v37, v136, v137
	;; [unrolled: 1-line block ×3, first 2 shown]
	v_fma_f32 v5, -0.5, v14, v120
	v_fma_f32 v121, -0.5, v19, v121
	v_sub_f32_e32 v29, v132, v133
	v_dual_add_f32 v33, v126, v6 :: v_dual_add_f32 v6, v16, v131
	v_sub_f32_e32 v35, v134, v135
	v_dual_add_f32 v2, v10, v129 :: v_dual_add_f32 v3, v12, v3
	v_fma_f32 v11, -0.5, v28, v124
	v_add_f32_e32 v12, v30, v135
	v_fma_f32 v10, -0.5, v25, v123
	v_dual_sub_f32 v127, v136, v137 :: v_dual_fmac_f32 v126, -0.5, v34
	v_add_f32_e32 v14, v36, v137
	v_fma_f32 v125, -0.5, v31, v125
	v_fmamk_f32 v16, v17, 0xbf5db3d7, v4
	v_fmac_f32_e32 v4, 0x3f5db3d7, v17
	v_fmac_f32_e32 v1, -0.5, v101
	v_fmamk_f32 v19, v23, 0x3f5db3d7, v122
	v_fmac_f32_e32 v122, 0xbf5db3d7, v23
	v_fma_f32 v0, -0.5, v37, v0
	v_fmamk_f32 v17, v18, 0x3f5db3d7, v5
	v_fmac_f32_e32 v5, 0xbf5db3d7, v18
	v_dual_add_f32 v7, v21, v7 :: v_dual_fmamk_f32 v18, v20, 0xbf5db3d7, v121
	v_fmac_f32_e32 v121, 0x3f5db3d7, v20
	v_add_f32_e32 v9, v27, v9
	v_dual_add_f32 v13, v33, v13 :: v_dual_fmamk_f32 v22, v32, 0xbf5db3d7, v125
	v_dual_add_f32 v15, v39, v15 :: v_dual_fmamk_f32 v24, v38, 0xbf5db3d7, v0
	v_fmamk_f32 v20, v26, 0xbf5db3d7, v10
	v_dual_fmac_f32 v10, 0x3f5db3d7, v26 :: v_dual_fmamk_f32 v21, v29, 0x3f5db3d7, v11
	v_fmac_f32_e32 v11, 0xbf5db3d7, v29
	v_fmamk_f32 v23, v35, 0x3f5db3d7, v126
	v_fmac_f32_e32 v126, 0xbf5db3d7, v35
	v_dual_fmac_f32 v0, 0x3f5db3d7, v38 :: v_dual_fmamk_f32 v25, v127, 0x3f5db3d7, v1
	v_fmac_f32_e32 v1, 0xbf5db3d7, v127
	v_fmac_f32_e32 v125, 0x3f5db3d7, v32
	ds_store_2addr_b64 v190, v[2:3], v[16:17] offset1:9
	ds_store_b64 v190, v[4:5] offset:144
	ds_store_2addr_b64 v191, v[6:7], v[18:19] offset1:9
	ds_store_b64 v191, v[121:122] offset:144
	;; [unrolled: 2-line block ×5, first 2 shown]
	global_wb scope:SCOPE_SE
	s_wait_dscnt 0x0
	s_barrier_signal -1
	s_barrier_wait -1
	global_inv scope:SCOPE_SE
	ds_load_2addr_b64 v[0:3], v175 offset0:126 offset1:189
	ds_load_2addr_b64 v[4:7], v117 offset0:122 offset1:185
	;; [unrolled: 1-line block ×6, first 2 shown]
	ds_load_2addr_b64 v[24:27], v175 offset1:63
	ds_load_b64 v[28:29], v175 offset:7056
	global_wb scope:SCOPE_SE
	s_wait_dscnt 0x0
	s_barrier_signal -1
	s_barrier_wait -1
	global_inv scope:SCOPE_SE
	v_mul_f32_e32 v30, v61, v3
	v_mul_f32_e32 v32, v63, v5
	;; [unrolled: 1-line block ×7, first 2 shown]
	v_dual_mul_f32 v57, v49, v21 :: v_dual_fmac_f32 v34, v56, v10
	v_fmac_f32_e32 v36, v58, v12
	v_mul_f32_e32 v49, v49, v20
	v_mul_f32_e32 v33, v63, v4
	v_dual_mul_f32 v39, v53, v16 :: v_dual_fmac_f32 v30, v60, v2
	v_mul_f32_e32 v2, v51, v14
	v_mul_f32_e32 v37, v59, v12
	v_fma_f32 v31, v60, v3, -v31
	v_dual_fmac_f32 v32, v62, v4 :: v_dual_mul_f32 v3, v45, v18
	v_mul_f32_e32 v4, v47, v8
	v_fmac_f32_e32 v57, v48, v20
	v_fma_f32 v20, v48, v21, -v49
	v_mul_f32_e32 v21, v45, v19
	v_dual_mul_f32 v45, v47, v9 :: v_dual_fmac_f32 v38, v52, v16
	v_fma_f32 v35, v56, v11, -v35
	v_fma_f32 v47, v50, v15, -v2
	v_add_f32_e32 v2, v32, v34
	v_mul_f32_e32 v48, v41, v23
	v_mul_f32_e32 v53, v55, v7
	v_fma_f32 v33, v62, v5, -v33
	v_fmac_f32_e32 v45, v46, v8
	v_fma_f32 v46, v46, v9, -v4
	v_add_f32_e32 v4, v24, v30
	v_fma_f32 v12, v58, v13, -v37
	v_mul_f32_e32 v59, v51, v15
	v_fma_f32 v2, -0.5, v2, v24
	v_fmac_f32_e32 v48, v40, v22
	v_dual_fmac_f32 v53, v54, v6 :: v_dual_mul_f32 v10, v43, v28
	v_sub_f32_e32 v5, v31, v12
	v_dual_mul_f32 v55, v55, v6 :: v_dual_sub_f32 v6, v30, v32
	v_dual_sub_f32 v8, v36, v34 :: v_dual_add_f32 v9, v30, v36
	v_sub_f32_e32 v16, v12, v35
	v_fma_f32 v37, v52, v17, -v39
	s_delay_alu instid0(VALU_DEP_3) | instskip(NEXT) | instid1(VALU_DEP_4)
	v_add_f32_e32 v11, v6, v8
	v_fma_f32 v6, -0.5, v9, v24
	v_fmac_f32_e32 v21, v44, v18
	v_fma_f32 v44, v44, v19, -v3
	v_mul_f32_e32 v3, v41, v22
	v_sub_f32_e32 v9, v34, v36
	v_add_f32_e32 v18, v26, v38
	s_delay_alu instid0(VALU_DEP_3) | instskip(SKIP_3) | instid1(VALU_DEP_3)
	v_fma_f32 v23, v40, v23, -v3
	v_dual_add_f32 v3, v4, v32 :: v_dual_fmamk_f32 v4, v5, 0xbf737871, v2
	v_fma_f32 v39, v54, v7, -v55
	v_dual_sub_f32 v7, v33, v35 :: v_dual_fmac_f32 v2, 0x3f737871, v5
	v_add_f32_e32 v3, v3, v34
	v_dual_fmac_f32 v59, v50, v14 :: v_dual_add_f32 v14, v33, v35
	s_delay_alu instid0(VALU_DEP_4) | instskip(NEXT) | instid1(VALU_DEP_3)
	v_sub_f32_e32 v19, v39, v20
	v_dual_add_f32 v8, v3, v36 :: v_dual_sub_f32 v3, v32, v30
	s_delay_alu instid0(VALU_DEP_3) | instskip(NEXT) | instid1(VALU_DEP_2)
	v_dual_sub_f32 v15, v31, v33 :: v_dual_add_f32 v24, v38, v59
	v_add_f32_e32 v9, v3, v9
	v_fma_f32 v3, -0.5, v14, v25
	v_dual_sub_f32 v14, v32, v34 :: v_dual_mul_f32 v41, v43, v29
	s_delay_alu instid0(VALU_DEP_4) | instskip(SKIP_1) | instid1(VALU_DEP_3)
	v_dual_add_f32 v15, v15, v16 :: v_dual_sub_f32 v16, v33, v31
	v_add_f32_e32 v13, v25, v31
	v_dual_fmac_f32 v4, 0xbf167918, v7 :: v_dual_fmac_f32 v41, v42, v28
	v_fma_f32 v28, v42, v29, -v10
	v_fmamk_f32 v10, v7, 0x3f737871, v6
	v_fmac_f32_e32 v2, 0x3f167918, v7
	v_dual_fmac_f32 v6, 0xbf737871, v7 :: v_dual_add_f32 v7, v13, v33
	v_dual_sub_f32 v13, v30, v36 :: v_dual_sub_f32 v22, v59, v57
	s_delay_alu instid0(VALU_DEP_3) | instskip(SKIP_1) | instid1(VALU_DEP_4)
	v_fmac_f32_e32 v2, 0x3e9e377a, v11
	v_fmac_f32_e32 v10, 0xbf167918, v5
	;; [unrolled: 1-line block ×3, first 2 shown]
	s_delay_alu instid0(VALU_DEP_4)
	v_fmamk_f32 v5, v13, 0x3f737871, v3
	v_fmac_f32_e32 v3, 0xbf737871, v13
	v_fmac_f32_e32 v4, 0x3e9e377a, v11
	v_add_f32_e32 v11, v7, v35
	v_add_f32_e32 v7, v31, v12
	v_fmac_f32_e32 v5, 0x3f167918, v14
	v_fmac_f32_e32 v3, 0xbf167918, v14
	;; [unrolled: 1-line block ×4, first 2 shown]
	v_fma_f32 v7, -0.5, v7, v25
	v_fmac_f32_e32 v5, 0x3e9e377a, v15
	v_add_f32_e32 v17, v53, v57
	v_fmac_f32_e32 v3, 0x3e9e377a, v15
	v_add_f32_e32 v15, v18, v53
	v_dual_sub_f32 v18, v38, v53 :: v_dual_add_f32 v9, v11, v12
	v_dual_sub_f32 v12, v35, v12 :: v_dual_fmamk_f32 v11, v14, 0xbf737871, v7
	v_fmac_f32_e32 v7, 0x3f737871, v14
	v_dual_sub_f32 v29, v37, v39 :: v_dual_sub_f32 v30, v47, v20
	s_delay_alu instid0(VALU_DEP_3)
	v_add_f32_e32 v16, v16, v12
	v_fma_f32 v12, -0.5, v17, v26
	v_sub_f32_e32 v17, v37, v47
	v_fma_f32 v26, -0.5, v24, v26
	v_fmac_f32_e32 v7, 0xbf167918, v13
	v_add_f32_e32 v24, v27, v37
	v_fmac_f32_e32 v11, 0x3f167918, v13
	v_dual_fmamk_f32 v14, v17, 0xbf737871, v12 :: v_dual_add_f32 v13, v15, v57
	v_dual_add_f32 v15, v18, v22 :: v_dual_fmac_f32 v12, 0x3f737871, v17
	v_fmamk_f32 v18, v19, 0x3f737871, v26
	v_fmac_f32_e32 v26, 0xbf737871, v19
	v_dual_fmac_f32 v7, 0x3e9e377a, v16 :: v_dual_sub_f32 v22, v57, v59
	s_delay_alu instid0(VALU_DEP_3) | instskip(NEXT) | instid1(VALU_DEP_3)
	v_dual_add_f32 v25, v39, v20 :: v_dual_fmac_f32 v18, 0xbf167918, v17
	v_fmac_f32_e32 v26, 0x3f167918, v17
	v_fmac_f32_e32 v14, 0xbf167918, v19
	;; [unrolled: 1-line block ×3, first 2 shown]
	v_add_f32_e32 v19, v24, v39
	v_dual_sub_f32 v24, v38, v59 :: v_dual_fmac_f32 v11, 0x3e9e377a, v16
	v_add_f32_e32 v16, v13, v59
	v_sub_f32_e32 v13, v53, v38
	v_dual_add_f32 v32, v21, v41 :: v_dual_sub_f32 v33, v28, v23
	v_sub_f32_e32 v31, v41, v48
	v_sub_f32_e32 v34, v46, v44
	s_delay_alu instid0(VALU_DEP_4) | instskip(SKIP_1) | instid1(VALU_DEP_2)
	v_add_f32_e32 v22, v13, v22
	v_fma_f32 v13, -0.5, v25, v27
	v_fmac_f32_e32 v18, 0x3e9e377a, v22
	v_fmac_f32_e32 v26, 0x3e9e377a, v22
	v_add_f32_e32 v22, v29, v30
	v_dual_add_f32 v30, v45, v48 :: v_dual_sub_f32 v29, v39, v37
	s_delay_alu instid0(VALU_DEP_1) | instskip(SKIP_2) | instid1(VALU_DEP_2)
	v_fma_f32 v100, -0.5, v30, v0
	v_dual_add_f32 v17, v19, v20 :: v_dual_sub_f32 v20, v20, v47
	v_dual_sub_f32 v30, v46, v23 :: v_dual_sub_f32 v25, v53, v57
	v_dual_add_f32 v29, v29, v20 :: v_dual_add_f32 v20, v0, v21
	v_fmac_f32_e32 v14, 0x3e9e377a, v15
	v_fmac_f32_e32 v12, 0x3e9e377a, v15
	v_fmamk_f32 v15, v24, 0x3f737871, v13
	v_fmac_f32_e32 v13, 0xbf737871, v24
	v_fma_f32 v0, -0.5, v32, v0
	v_sub_f32_e32 v32, v48, v41
	s_delay_alu instid0(VALU_DEP_4) | instskip(NEXT) | instid1(VALU_DEP_4)
	v_fmac_f32_e32 v15, 0x3f167918, v25
	v_fmac_f32_e32 v13, 0xbf167918, v25
	s_delay_alu instid0(VALU_DEP_2) | instskip(NEXT) | instid1(VALU_DEP_2)
	v_fmac_f32_e32 v15, 0x3e9e377a, v22
	v_dual_fmac_f32 v13, 0x3e9e377a, v22 :: v_dual_add_f32 v22, v20, v45
	s_delay_alu instid0(VALU_DEP_1) | instskip(NEXT) | instid1(VALU_DEP_1)
	v_dual_add_f32 v19, v37, v47 :: v_dual_add_f32 v22, v22, v48
	v_dual_fmac_f32 v27, -0.5, v19 :: v_dual_add_f32 v22, v22, v41
	s_delay_alu instid0(VALU_DEP_1) | instskip(SKIP_2) | instid1(VALU_DEP_3)
	v_fmamk_f32 v19, v25, 0xbf737871, v27
	v_fmac_f32_e32 v27, 0x3f737871, v25
	v_sub_f32_e32 v25, v44, v28
	v_fmac_f32_e32 v19, 0x3f167918, v24
	s_delay_alu instid0(VALU_DEP_3) | instskip(NEXT) | instid1(VALU_DEP_3)
	v_fmac_f32_e32 v27, 0xbf167918, v24
	v_fmamk_f32 v20, v25, 0xbf737871, v100
	v_sub_f32_e32 v24, v21, v45
	v_fmac_f32_e32 v100, 0x3f737871, v25
	s_delay_alu instid0(VALU_DEP_3) | instskip(NEXT) | instid1(VALU_DEP_3)
	v_fmac_f32_e32 v20, 0xbf167918, v30
	v_add_f32_e32 v24, v24, v31
	s_delay_alu instid0(VALU_DEP_3) | instskip(NEXT) | instid1(VALU_DEP_2)
	v_dual_fmac_f32 v100, 0x3f167918, v30 :: v_dual_add_f32 v17, v17, v47
	v_dual_sub_f32 v31, v45, v21 :: v_dual_fmac_f32 v20, 0x3e9e377a, v24
	s_delay_alu instid0(VALU_DEP_2)
	v_fmac_f32_e32 v100, 0x3e9e377a, v24
	v_fmamk_f32 v24, v30, 0x3f737871, v0
	v_fmac_f32_e32 v0, 0xbf737871, v30
	v_add_f32_e32 v30, v1, v44
	v_add_f32_e32 v31, v31, v32
	v_sub_f32_e32 v32, v45, v48
	v_fmac_f32_e32 v24, 0xbf167918, v25
	s_delay_alu instid0(VALU_DEP_1) | instskip(SKIP_4) | instid1(VALU_DEP_4)
	v_dual_fmac_f32 v27, 0x3e9e377a, v29 :: v_dual_fmac_f32 v24, 0x3e9e377a, v31
	v_fmac_f32_e32 v0, 0x3f167918, v25
	v_fmac_f32_e32 v19, 0x3e9e377a, v29
	v_add_f32_e32 v29, v46, v23
	v_dual_add_f32 v25, v30, v46 :: v_dual_add_f32 v30, v44, v28
	v_fmac_f32_e32 v0, 0x3e9e377a, v31
	s_delay_alu instid0(VALU_DEP_3) | instskip(SKIP_1) | instid1(VALU_DEP_4)
	v_fma_f32 v101, -0.5, v29, v1
	v_sub_f32_e32 v29, v21, v41
	v_fmac_f32_e32 v1, -0.5, v30
	v_dual_sub_f32 v30, v44, v46 :: v_dual_add_f32 v31, v25, v23
	v_sub_f32_e32 v23, v23, v28
	s_delay_alu instid0(VALU_DEP_4) | instskip(SKIP_3) | instid1(VALU_DEP_4)
	v_fmamk_f32 v21, v29, 0x3f737871, v101
	v_fmac_f32_e32 v101, 0xbf737871, v29
	v_fmamk_f32 v25, v32, 0xbf737871, v1
	v_dual_fmac_f32 v1, 0x3f737871, v32 :: v_dual_add_f32 v30, v30, v33
	v_fmac_f32_e32 v21, 0x3f167918, v32
	s_delay_alu instid0(VALU_DEP_4) | instskip(NEXT) | instid1(VALU_DEP_4)
	v_fmac_f32_e32 v101, 0xbf167918, v32
	v_dual_fmac_f32 v25, 0x3f167918, v29 :: v_dual_add_f32 v32, v34, v23
	s_delay_alu instid0(VALU_DEP_4)
	v_fmac_f32_e32 v1, 0xbf167918, v29
	v_add_f32_e32 v23, v31, v28
	v_fmac_f32_e32 v21, 0x3e9e377a, v30
	v_fmac_f32_e32 v101, 0x3e9e377a, v30
	v_fmac_f32_e32 v25, 0x3e9e377a, v32
	v_fmac_f32_e32 v1, 0x3e9e377a, v32
	ds_store_2addr_b64 v194, v[8:9], v[4:5] offset1:27
	ds_store_2addr_b64 v194, v[10:11], v[6:7] offset0:54 offset1:81
	ds_store_b64 v194, v[2:3] offset:864
	ds_store_2addr_b64 v193, v[16:17], v[14:15] offset1:27
	ds_store_2addr_b64 v193, v[18:19], v[26:27] offset0:54 offset1:81
	ds_store_b64 v193, v[12:13] offset:864
	;; [unrolled: 3-line block ×3, first 2 shown]
	global_wb scope:SCOPE_SE
	s_wait_dscnt 0x0
	s_barrier_signal -1
	s_barrier_wait -1
	global_inv scope:SCOPE_SE
	ds_load_2addr_b64 v[0:3], v175 offset1:63
	ds_load_2addr_b64 v[24:27], v175 offset0:135 offset1:198
	ds_load_2addr_b64 v[16:19], v117 offset0:14 offset1:77
	;; [unrolled: 1-line block ×6, first 2 shown]
	s_and_saveexec_b32 s0, vcc_lo
	s_cbranch_execz .LBB0_7
; %bb.6:
	v_add_nc_u32_e32 v28, 0x200, v175
	ds_load_2addr_b64 v[104:107], v115 offset0:12 offset1:147
	ds_load_2addr_b64 v[108:111], v114 offset0:26 offset1:161
	ds_load_2addr_b64 v[100:103], v28 offset0:62 offset1:197
	ds_load_b64 v[112:113], v175 offset:7488
.LBB0_7:
	s_wait_alu 0xfffe
	s_or_b32 exec_lo, exec_lo, s0
	s_wait_dscnt 0x4
	v_dual_mul_f32 v28, v97, v25 :: v_dual_mul_f32 v31, v99, v16
	v_dual_mul_f32 v29, v97, v24 :: v_dual_mul_f32 v30, v99, v17
	s_wait_dscnt 0x1
	v_mul_f32_e32 v32, v77, v9
	s_delay_alu instid0(VALU_DEP_3) | instskip(NEXT) | instid1(VALU_DEP_3)
	v_fmac_f32_e32 v28, v96, v24
	v_fma_f32 v24, v96, v25, -v29
	v_dual_fmac_f32 v30, v98, v16 :: v_dual_mul_f32 v29, v91, v5
	v_fma_f32 v16, v98, v17, -v31
	v_mul_f32_e32 v17, v89, v21
	v_mul_f32_e32 v25, v89, v20
	;; [unrolled: 1-line block ×3, first 2 shown]
	v_fmac_f32_e32 v29, v90, v4
	v_fmac_f32_e32 v32, v76, v8
	;; [unrolled: 1-line block ×3, first 2 shown]
	s_delay_alu instid0(VALU_DEP_4)
	v_fma_f32 v4, v90, v5, -v31
	s_wait_dscnt 0x0
	v_dual_mul_f32 v5, v77, v8 :: v_dual_mul_f32 v8, v79, v13
	v_fma_f32 v20, v88, v21, -v25
	v_mul_f32_e32 v25, v93, v27
	v_mul_f32_e32 v21, v79, v12
	s_delay_alu instid0(VALU_DEP_4) | instskip(SKIP_1) | instid1(VALU_DEP_4)
	v_dual_mul_f32 v31, v93, v26 :: v_dual_fmac_f32 v8, v78, v12
	v_mul_f32_e32 v12, v95, v18
	v_dual_fmac_f32 v25, v92, v26 :: v_dual_mul_f32 v26, v95, v19
	s_delay_alu instid0(VALU_DEP_1)
	v_fmac_f32_e32 v26, v94, v18
	v_fma_f32 v5, v76, v9, -v5
	v_fma_f32 v9, v78, v13, -v21
	;; [unrolled: 1-line block ×3, first 2 shown]
	v_mul_f32_e32 v31, v87, v7
	v_mul_f32_e32 v27, v85, v23
	;; [unrolled: 1-line block ×3, first 2 shown]
	v_fma_f32 v18, v94, v19, -v12
	v_mul_f32_e32 v12, v81, v10
	v_fmac_f32_e32 v31, v86, v6
	v_mul_f32_e32 v6, v87, v6
	v_dual_fmac_f32 v27, v84, v22 :: v_dual_mul_f32 v22, v81, v11
	s_delay_alu instid0(VALU_DEP_4) | instskip(SKIP_1) | instid1(VALU_DEP_4)
	v_fma_f32 v34, v80, v11, -v12
	v_sub_f32_e32 v12, v30, v32
	v_fma_f32 v33, v86, v7, -v6
	v_add_f32_e32 v6, v28, v8
	v_fma_f32 v19, v84, v23, -v13
	v_dual_mul_f32 v23, v83, v15 :: v_dual_fmac_f32 v22, v80, v10
	v_dual_mul_f32 v13, v83, v14 :: v_dual_sub_f32 v8, v28, v8
	v_add_f32_e32 v10, v30, v32
	s_delay_alu instid0(VALU_DEP_3) | instskip(SKIP_1) | instid1(VALU_DEP_4)
	v_dual_fmac_f32 v23, v82, v14 :: v_dual_add_f32 v14, v20, v4
	v_sub_f32_e32 v4, v4, v20
	v_fma_f32 v35, v82, v15, -v13
	v_sub_f32_e32 v15, v29, v17
	v_add_f32_e32 v7, v24, v9
	v_add_f32_e32 v13, v17, v29
	v_dual_sub_f32 v9, v24, v9 :: v_dual_sub_f32 v20, v10, v6
	s_delay_alu instid0(VALU_DEP_4) | instskip(SKIP_1) | instid1(VALU_DEP_4)
	v_dual_add_f32 v28, v15, v12 :: v_dual_add_f32 v11, v16, v5
	v_dual_sub_f32 v5, v16, v5 :: v_dual_add_f32 v16, v10, v6
	v_sub_f32_e32 v10, v13, v10
	v_sub_f32_e32 v6, v6, v13
	s_delay_alu instid0(VALU_DEP_4) | instskip(SKIP_4) | instid1(VALU_DEP_4)
	v_sub_f32_e32 v24, v11, v7
	v_add_f32_e32 v17, v11, v7
	v_dual_sub_f32 v7, v7, v14 :: v_dual_sub_f32 v32, v4, v5
	v_dual_sub_f32 v11, v14, v11 :: v_dual_sub_f32 v30, v15, v12
	v_sub_f32_e32 v12, v12, v8
	v_dual_sub_f32 v15, v8, v15 :: v_dual_add_f32 v14, v14, v17
	v_dual_add_f32 v13, v13, v16 :: v_dual_mul_f32 v6, 0x3f4a47b2, v6
	v_dual_add_f32 v29, v4, v5 :: v_dual_sub_f32 v4, v9, v4
	v_dual_sub_f32 v5, v5, v9 :: v_dual_add_f32 v8, v28, v8
	s_delay_alu instid0(VALU_DEP_3) | instskip(SKIP_1) | instid1(VALU_DEP_4)
	v_dual_add_f32 v0, v0, v13 :: v_dual_add_f32 v1, v1, v14
	v_mul_f32_e32 v17, 0x3d64c772, v11
	v_dual_mul_f32 v28, 0x3f08b237, v30 :: v_dual_add_f32 v9, v29, v9
	v_mul_f32_e32 v16, 0x3d64c772, v10
	v_mul_f32_e32 v29, 0x3f08b237, v32
	v_dual_fmamk_f32 v13, v13, 0xbf955555, v0 :: v_dual_fmamk_f32 v14, v14, 0xbf955555, v1
	v_fmamk_f32 v10, v10, 0x3d64c772, v6
	v_mul_f32_e32 v7, 0x3f4a47b2, v7
	v_fma_f32 v17, 0x3f3bfb3b, v24, -v17
	v_mul_f32_e32 v30, 0xbf5ff5aa, v12
	v_fma_f32 v12, 0xbf5ff5aa, v12, -v28
	v_fma_f32 v16, 0x3f3bfb3b, v20, -v16
	;; [unrolled: 1-line block ×3, first 2 shown]
	v_fmamk_f32 v20, v15, 0xbeae86e6, v28
	v_fma_f32 v15, 0x3eae86e6, v15, -v30
	v_dual_add_f32 v30, v10, v13 :: v_dual_fmamk_f32 v11, v11, 0x3d64c772, v7
	v_add_f32_e32 v10, v16, v13
	v_fma_f32 v7, 0xbf3bfb3b, v24, -v7
	v_fmac_f32_e32 v12, 0xbee1c552, v8
	v_fmamk_f32 v24, v4, 0xbeae86e6, v29
	v_fmac_f32_e32 v15, 0xbee1c552, v8
	v_mul_f32_e32 v32, 0xbf5ff5aa, v5
	v_fma_f32 v28, 0xbf5ff5aa, v5, -v29
	v_add_f32_e32 v13, v6, v13
	v_fmac_f32_e32 v24, 0xbee1c552, v9
	s_delay_alu instid0(VALU_DEP_4) | instskip(SKIP_2) | instid1(VALU_DEP_4)
	v_fma_f32 v29, 0x3eae86e6, v4, -v32
	v_add_f32_e32 v32, v11, v14
	v_dual_add_f32 v11, v17, v14 :: v_dual_fmac_f32 v20, 0xbee1c552, v8
	v_dual_add_f32 v4, v24, v30 :: v_dual_add_f32 v17, v21, v35
	s_delay_alu instid0(VALU_DEP_4) | instskip(NEXT) | instid1(VALU_DEP_3)
	v_fmac_f32_e32 v29, 0xbee1c552, v9
	v_dual_fmac_f32 v28, 0xbee1c552, v9 :: v_dual_add_f32 v9, v12, v11
	s_delay_alu instid0(VALU_DEP_4) | instskip(NEXT) | instid1(VALU_DEP_3)
	v_dual_add_f32 v14, v7, v14 :: v_dual_sub_f32 v5, v32, v20
	v_dual_add_f32 v6, v29, v13 :: v_dual_sub_f32 v11, v11, v12
	s_delay_alu instid0(VALU_DEP_2)
	v_dual_sub_f32 v12, v13, v29 :: v_dual_sub_f32 v7, v14, v15
	v_dual_add_f32 v13, v15, v14 :: v_dual_sub_f32 v14, v30, v24
	v_add_f32_e32 v15, v20, v32
	v_dual_sub_f32 v8, v10, v28 :: v_dual_sub_f32 v21, v21, v35
	v_add_f32_e32 v10, v28, v10
	v_add_f32_e32 v24, v18, v34
	;; [unrolled: 1-line block ×3, first 2 shown]
	v_dual_sub_f32 v20, v25, v23 :: v_dual_add_f32 v23, v26, v22
	v_add_f32_e32 v25, v27, v31
	v_sub_f32_e32 v27, v31, v27
	s_delay_alu instid0(VALU_DEP_3) | instskip(NEXT) | instid1(VALU_DEP_3)
	v_dual_add_f32 v29, v24, v17 :: v_dual_add_f32 v28, v23, v16
	v_dual_sub_f32 v30, v23, v16 :: v_dual_sub_f32 v23, v25, v23
	v_dual_sub_f32 v31, v24, v17 :: v_dual_sub_f32 v22, v26, v22
	v_dual_add_f32 v26, v19, v33 :: v_dual_sub_f32 v19, v33, v19
	v_sub_f32_e32 v18, v18, v34
	v_dual_sub_f32 v16, v16, v25 :: v_dual_add_f32 v25, v25, v28
	s_delay_alu instid0(VALU_DEP_3) | instskip(NEXT) | instid1(VALU_DEP_3)
	v_dual_sub_f32 v17, v17, v26 :: v_dual_sub_f32 v24, v26, v24
	v_sub_f32_e32 v35, v19, v18
	v_add_f32_e32 v32, v27, v22
	v_add_f32_e32 v33, v19, v18
	s_delay_alu instid0(VALU_DEP_4) | instskip(SKIP_2) | instid1(VALU_DEP_3)
	v_dual_mul_f32 v17, 0x3f4a47b2, v17 :: v_dual_sub_f32 v34, v27, v22
	v_add_f32_e32 v26, v26, v29
	v_dual_mul_f32 v28, 0x3d64c772, v23 :: v_dual_mul_f32 v29, 0x3d64c772, v24
	v_fmamk_f32 v24, v24, 0x3d64c772, v17
	v_mul_f32_e32 v16, 0x3f4a47b2, v16
	v_dual_add_f32 v2, v2, v25 :: v_dual_sub_f32 v27, v20, v27
	v_sub_f32_e32 v19, v21, v19
	v_fma_f32 v29, 0x3f3bfb3b, v31, -v29
	s_delay_alu instid0(VALU_DEP_4) | instskip(NEXT) | instid1(VALU_DEP_4)
	v_dual_fmamk_f32 v23, v23, 0x3d64c772, v16 :: v_dual_sub_f32 v18, v18, v21
	v_fmamk_f32 v25, v25, 0xbf955555, v2
	v_add_f32_e32 v21, v33, v21
	v_dual_mul_f32 v33, 0x3f08b237, v35 :: v_dual_sub_f32 v22, v22, v20
	v_dual_add_f32 v3, v3, v26 :: v_dual_add_f32 v20, v32, v20
	v_mul_f32_e32 v35, 0xbf5ff5aa, v18
	v_fma_f32 v28, 0x3f3bfb3b, v30, -v28
	v_mul_f32_e32 v32, 0x3f08b237, v34
	v_mul_f32_e32 v34, 0xbf5ff5aa, v22
	v_fma_f32 v16, 0xbf3bfb3b, v30, -v16
	v_fma_f32 v17, 0xbf3bfb3b, v31, -v17
	s_delay_alu instid0(VALU_DEP_4) | instskip(NEXT) | instid1(VALU_DEP_4)
	v_fmamk_f32 v30, v27, 0xbeae86e6, v32
	v_fma_f32 v27, 0x3eae86e6, v27, -v34
	v_add_f32_e32 v34, v23, v25
	v_add_f32_e32 v23, v28, v25
	v_fma_f32 v32, 0xbf5ff5aa, v22, -v32
	v_fma_f32 v22, 0xbf5ff5aa, v18, -v33
	v_fmac_f32_e32 v27, 0xbee1c552, v20
	v_fmac_f32_e32 v30, 0xbee1c552, v20
	v_fmamk_f32 v26, v26, 0xbf955555, v3
	v_fmamk_f32 v31, v19, 0xbeae86e6, v33
	v_fma_f32 v33, 0x3eae86e6, v19, -v35
	v_add_f32_e32 v25, v16, v25
	s_delay_alu instid0(VALU_DEP_4) | instskip(SKIP_3) | instid1(VALU_DEP_4)
	v_add_f32_e32 v35, v24, v26
	v_add_f32_e32 v24, v29, v26
	v_dual_add_f32 v26, v17, v26 :: v_dual_fmac_f32 v31, 0xbee1c552, v21
	v_dual_fmac_f32 v33, 0xbee1c552, v21 :: v_dual_fmac_f32 v32, 0xbee1c552, v20
	v_dual_fmac_f32 v22, 0xbee1c552, v21 :: v_dual_sub_f32 v17, v35, v30
	s_delay_alu instid0(VALU_DEP_3) | instskip(NEXT) | instid1(VALU_DEP_3)
	v_add_f32_e32 v16, v31, v34
	v_dual_add_f32 v18, v33, v25 :: v_dual_sub_f32 v19, v26, v27
	s_delay_alu instid0(VALU_DEP_3)
	v_dual_sub_f32 v20, v23, v22 :: v_dual_add_f32 v21, v32, v24
	v_dual_add_f32 v22, v22, v23 :: v_dual_sub_f32 v23, v24, v32
	v_dual_sub_f32 v24, v25, v33 :: v_dual_add_f32 v25, v27, v26
	v_sub_f32_e32 v26, v34, v31
	v_add_f32_e32 v27, v30, v35
	ds_store_b64 v175, v[4:5] offset:1080
	ds_store_b64 v175, v[6:7] offset:2160
	;; [unrolled: 1-line block ×6, first 2 shown]
	ds_store_2addr_b64 v175, v[0:1], v[2:3] offset1:63
	ds_store_b64 v175, v[16:17] offset:1584
	ds_store_b64 v175, v[18:19] offset:2664
	ds_store_b64 v175, v[20:21] offset:3744
	ds_store_b64 v175, v[22:23] offset:4824
	ds_store_b64 v175, v[24:25] offset:5904
	ds_store_b64 v175, v[26:27] offset:6984
	s_and_saveexec_b32 s0, vcc_lo
	s_cbranch_execz .LBB0_9
; %bb.8:
	v_dual_mul_f32 v0, v69, v103 :: v_dual_mul_f32 v1, v67, v109
	v_dual_mul_f32 v2, v65, v107 :: v_dual_mul_f32 v3, v71, v105
	;; [unrolled: 1-line block ×3, first 2 shown]
	s_delay_alu instid0(VALU_DEP_2) | instskip(NEXT) | instid1(VALU_DEP_2)
	v_dual_fmac_f32 v1, v66, v108 :: v_dual_fmac_f32 v2, v64, v106
	v_dual_fmac_f32 v3, v70, v104 :: v_dual_fmac_f32 v4, v72, v110
	s_delay_alu instid0(VALU_DEP_3) | instskip(NEXT) | instid1(VALU_DEP_3)
	v_dual_fmac_f32 v0, v68, v102 :: v_dual_fmac_f32 v5, v74, v112
	v_sub_f32_e32 v6, v1, v2
	v_mul_f32_e32 v8, v75, v112
	s_delay_alu instid0(VALU_DEP_4) | instskip(SKIP_3) | instid1(VALU_DEP_4)
	v_sub_f32_e32 v7, v3, v4
	v_mul_f32_e32 v11, v69, v102
	v_sub_f32_e32 v9, v0, v5
	v_dual_mul_f32 v13, v73, v110 :: v_dual_mul_f32 v14, v71, v104
	v_dual_sub_f32 v10, v6, v7 :: v_dual_mul_f32 v15, v65, v106
	v_mul_f32_e32 v16, v67, v108
	v_fma_f32 v8, v74, v113, -v8
	v_fma_f32 v11, v68, v103, -v11
	;; [unrolled: 1-line block ×6, first 2 shown]
	v_dual_sub_f32 v12, v9, v6 :: v_dual_add_f32 v17, v8, v11
	v_add_f32_e32 v2, v2, v1
	v_sub_f32_e32 v8, v11, v8
	s_delay_alu instid0(VALU_DEP_4) | instskip(SKIP_4) | instid1(VALU_DEP_4)
	v_add_f32_e32 v20, v15, v16
	v_add_f32_e32 v18, v13, v14
	v_dual_mul_f32 v10, 0x3f08b237, v10 :: v_dual_add_f32 v5, v5, v0
	v_sub_f32_e32 v15, v16, v15
	v_sub_f32_e32 v13, v14, v13
	v_add_f32_e32 v21, v18, v17
	s_delay_alu instid0(VALU_DEP_4) | instskip(NEXT) | instid1(VALU_DEP_3)
	v_dual_add_f32 v6, v6, v7 :: v_dual_fmamk_f32 v19, v12, 0xbeae86e6, v10
	v_sub_f32_e32 v11, v15, v13
	s_delay_alu instid0(VALU_DEP_1) | instskip(SKIP_1) | instid1(VALU_DEP_2)
	v_dual_add_f32 v6, v6, v9 :: v_dual_mul_f32 v11, 0x3f08b237, v11
	v_sub_f32_e32 v25, v8, v15
	v_fmac_f32_e32 v19, 0xbee1c552, v6
	v_add_f32_e32 v21, v20, v21
	v_add_f32_e32 v4, v4, v3
	s_delay_alu instid0(VALU_DEP_4) | instskip(NEXT) | instid1(VALU_DEP_3)
	v_fmamk_f32 v26, v25, 0xbeae86e6, v11
	v_add_f32_e32 v1, v101, v21
	s_delay_alu instid0(VALU_DEP_3) | instskip(SKIP_1) | instid1(VALU_DEP_3)
	v_dual_sub_f32 v22, v17, v20 :: v_dual_add_f32 v3, v4, v5
	v_dual_sub_f32 v0, v20, v18 :: v_dual_sub_f32 v17, v18, v17
	v_fmamk_f32 v21, v21, 0xbf955555, v1
	s_delay_alu instid0(VALU_DEP_3) | instskip(NEXT) | instid1(VALU_DEP_1)
	v_dual_mul_f32 v20, 0x3f4a47b2, v22 :: v_dual_add_f32 v3, v2, v3
	v_dual_mul_f32 v22, 0x3d64c772, v0 :: v_dual_fmamk_f32 v23, v0, 0x3d64c772, v20
	v_sub_f32_e32 v0, v5, v2
	v_dual_sub_f32 v2, v2, v4 :: v_dual_sub_f32 v7, v7, v9
	v_sub_f32_e32 v4, v4, v5
	s_delay_alu instid0(VALU_DEP_4) | instskip(NEXT) | instid1(VALU_DEP_4)
	v_add_f32_e32 v16, v23, v21
	v_mul_f32_e32 v14, 0x3f4a47b2, v0
	s_delay_alu instid0(VALU_DEP_1) | instskip(NEXT) | instid1(VALU_DEP_1)
	v_dual_add_f32 v0, v100, v3 :: v_dual_fmamk_f32 v23, v2, 0x3d64c772, v14
	v_fmamk_f32 v24, v3, 0xbf955555, v0
	v_mul_f32_e32 v2, 0x3d64c772, v2
	v_mul_f32_e32 v9, 0xbf5ff5aa, v7
	v_fma_f32 v14, 0xbf3bfb3b, v4, -v14
	v_add_f32_e32 v3, v19, v16
	v_add_f32_e32 v23, v23, v24
	v_fma_f32 v10, 0xbf5ff5aa, v7, -v10
	v_fma_f32 v12, 0x3eae86e6, v12, -v9
	v_sub_f32_e32 v5, v13, v8
	v_dual_add_f32 v13, v15, v13 :: v_dual_add_f32 v14, v14, v24
	v_fma_f32 v9, 0xbf3bfb3b, v17, -v20
	s_delay_alu instid0(VALU_DEP_4) | instskip(NEXT) | instid1(VALU_DEP_3)
	v_fmac_f32_e32 v12, 0xbee1c552, v6
	v_dual_mul_f32 v15, 0xbf5ff5aa, v5 :: v_dual_add_f32 v8, v13, v8
	v_fma_f32 v11, 0xbf5ff5aa, v5, -v11
	s_delay_alu instid0(VALU_DEP_4) | instskip(NEXT) | instid1(VALU_DEP_3)
	v_dual_add_f32 v13, v9, v21 :: v_dual_fmac_f32 v10, 0xbee1c552, v6
	v_fma_f32 v15, 0x3eae86e6, v25, -v15
	v_fma_f32 v9, 0x3f3bfb3b, v17, -v22
	;; [unrolled: 1-line block ×3, first 2 shown]
	v_fmac_f32_e32 v11, 0xbee1c552, v8
	v_dual_fmac_f32 v26, 0xbee1c552, v8 :: v_dual_add_f32 v5, v12, v13
	s_delay_alu instid0(VALU_DEP_3) | instskip(NEXT) | instid1(VALU_DEP_1)
	v_dual_add_f32 v9, v9, v21 :: v_dual_add_f32 v2, v2, v24
	v_dual_fmac_f32 v15, 0xbee1c552, v8 :: v_dual_add_f32 v6, v11, v2
	s_delay_alu instid0(VALU_DEP_1)
	v_dual_sub_f32 v4, v14, v15 :: v_dual_sub_f32 v7, v9, v10
	v_sub_f32_e32 v8, v2, v11
	v_dual_add_f32 v9, v10, v9 :: v_dual_add_f32 v10, v15, v14
	v_dual_sub_f32 v11, v13, v12 :: v_dual_add_f32 v12, v26, v23
	v_dual_sub_f32 v13, v16, v19 :: v_dual_sub_f32 v2, v23, v26
	v_add_nc_u32_e32 v14, 0x200, v175
	v_add_nc_u32_e32 v15, 0xc00, v175
	v_add_nc_u32_e32 v16, 0x1400, v175
	ds_store_2addr_b64 v14, v[0:1], v[12:13] offset0:62 offset1:197
	ds_store_2addr_b64 v15, v[10:11], v[8:9] offset0:12 offset1:147
	;; [unrolled: 1-line block ×3, first 2 shown]
	ds_store_b64 v175, v[2:3] offset:7488
.LBB0_9:
	s_wait_alu 0xfffe
	s_or_b32 exec_lo, exec_lo, s0
	global_wb scope:SCOPE_SE
	s_wait_dscnt 0x0
	s_barrier_signal -1
	s_barrier_wait -1
	global_inv scope:SCOPE_SE
	ds_load_2addr_b64 v[0:3], v175 offset1:63
	v_add_nc_u32_e32 v4, 0x400, v175
	v_add_nc_u32_e32 v8, 0x1000, v175
	v_mad_co_u64_u32 v[36:37], null, s6, v140, 0
	v_mad_co_u64_u32 v[38:39], null, s4, v176, 0
	s_mov_b32 s0, 0xbc011567
	s_mov_b32 s1, 0x3f51566a
	s_mul_u64 s[8:9], s[4:5], 0x9d8
	s_delay_alu instid0(VALU_DEP_1)
	v_mad_co_u64_u32 v[40:41], null, s7, v140, v[37:38]
	s_wait_dscnt 0x0
	v_mul_f32_e32 v19, v166, v2
	v_mul_f32_e32 v17, v168, v0
	ds_load_2addr_b64 v[4:7], v4 offset0:124 offset1:187
	ds_load_2addr_b64 v[8:11], v8 offset0:118 offset1:181
	v_add_nc_u32_e32 v12, 0x800, v175
	v_mul_f32_e32 v16, v168, v1
	v_mad_co_u64_u32 v[41:42], null, s5, v176, v[39:40]
	s_delay_alu instid0(VALU_DEP_2) | instskip(SKIP_1) | instid1(VALU_DEP_1)
	v_fmac_f32_e32 v16, v167, v0
	v_fma_f32 v0, v167, v1, -v17
	v_cvt_f64_f32_e32 v[22:23], v0
	s_wait_dscnt 0x1
	v_mul_f32_e32 v17, v170, v6
	ds_load_2addr_b64 v[12:15], v12 offset0:122 offset1:185
	s_wait_dscnt 0x1
	v_dual_mul_f32 v1, v170, v7 :: v_dual_mul_f32 v32, v164, v9
	v_mul_f32_e32 v18, v166, v3
	v_mul_f32_e32 v24, v164, v8
	v_fma_f32 v0, v169, v7, -v17
	s_delay_alu instid0(VALU_DEP_4) | instskip(NEXT) | instid1(VALU_DEP_4)
	v_fmac_f32_e32 v1, v169, v6
	v_fmac_f32_e32 v18, v165, v2
	v_fma_f32 v2, v165, v3, -v19
	s_delay_alu instid0(VALU_DEP_4) | instskip(NEXT) | instid1(VALU_DEP_4)
	v_cvt_f64_f32_e32 v[30:31], v0
	v_cvt_f64_f32_e32 v[28:29], v1
	s_delay_alu instid0(VALU_DEP_3) | instskip(SKIP_4) | instid1(VALU_DEP_3)
	v_cvt_f64_f32_e32 v[26:27], v2
	s_wait_dscnt 0x0
	v_mul_f32_e32 v43, v162, v13
	v_dual_mul_f32 v37, v162, v12 :: v_dual_add_nc_u32 v6, 0x1400, v175
	v_cvt_f64_f32_e32 v[20:21], v16
	v_dual_fmac_f32 v43, v161, v12 :: v_dual_add_nc_u32 v16, 0xc00, v175
	s_delay_alu instid0(VALU_DEP_3) | instskip(SKIP_2) | instid1(VALU_DEP_4)
	v_fma_f32 v39, v161, v13, -v37
	v_mov_b32_e32 v37, v40
	v_mul_f32_e32 v49, v150, v14
	v_cvt_f64_f32_e32 v[12:13], v43
	s_delay_alu instid0(VALU_DEP_4)
	v_cvt_f64_f32_e32 v[42:43], v39
	v_mov_b32_e32 v39, v41
	v_fma_f32 v3, v163, v9, -v24
	s_wait_alu 0xfffe
	v_mul_f64_e32 v[22:23], s[0:1], v[22:23]
	v_mul_f32_e32 v41, v148, v10
	s_delay_alu instid0(VALU_DEP_3)
	v_cvt_f64_f32_e32 v[34:35], v3
	ds_load_2addr_b64 v[0:3], v175 offset0:126 offset1:189
	v_fmac_f32_e32 v32, v163, v8
	v_fma_f32 v41, v147, v11, -v41
	v_mul_f64_e32 v[30:31], s[0:1], v[30:31]
	v_mul_f64_e32 v[28:29], s[0:1], v[28:29]
	;; [unrolled: 1-line block ×3, first 2 shown]
	s_wait_dscnt 0x0
	v_mul_f32_e32 v47, v152, v2
	v_cvt_f64_f32_e32 v[32:33], v32
	v_mul_f32_e32 v45, v154, v0
	v_cvt_f64_f32_e32 v[24:25], v18
	v_mul_f64_e32 v[20:21], s[0:1], v[20:21]
	ds_load_2addr_b64 v[6:9], v6 offset0:116 offset1:179
	ds_load_2addr_b64 v[16:19], v16 offset0:120 offset1:183
	v_mul_f32_e32 v44, v154, v1
	v_mul_f32_e32 v40, v148, v11
	v_fma_f32 v45, v153, v1, -v45
	v_mul_f32_e32 v46, v152, v3
	v_mul_f32_e32 v48, v150, v15
	v_fmac_f32_e32 v44, v153, v0
	v_lshlrev_b64_e32 v[0:1], 3, v[36:37]
	v_fmac_f32_e32 v40, v147, v10
	v_lshlrev_b64_e32 v[36:37], 3, v[38:39]
	v_cvt_f64_f32_e32 v[38:39], v45
	v_fmac_f32_e32 v46, v151, v2
	v_mul_f64_e32 v[34:35], s[0:1], v[34:35]
	v_add_co_u32 v45, vcc_lo, s2, v0
	v_mul_f64_e32 v[12:13], s[0:1], v[12:13]
	v_mul_f64_e32 v[42:43], s[0:1], v[42:43]
	s_wait_dscnt 0x1
	v_mul_f32_e32 v51, v160, v6
	v_cvt_f64_f32_e32 v[10:11], v44
	v_fma_f32 v44, v149, v15, -v49
	s_wait_alu 0xfffd
	v_add_co_ci_u32_e32 v49, vcc_lo, s3, v1, vcc_lo
	v_cvt_f64_f32_e32 v[0:1], v40
	v_add_co_u32 v36, vcc_lo, v45, v36
	s_wait_dscnt 0x0
	v_mul_f32_e32 v45, v142, v16
	s_wait_alu 0xfffd
	v_add_co_ci_u32_e32 v37, vcc_lo, v49, v37, vcc_lo
	v_add_co_u32 v54, vcc_lo, v36, s8
	s_movk_i32 s2, 0xee48
	s_wait_alu 0xfffd
	s_delay_alu instid0(VALU_DEP_2)
	v_add_co_ci_u32_e32 v55, vcc_lo, s9, v37, vcc_lo
	v_mul_f64_e32 v[32:33], s[0:1], v[32:33]
	v_mul_f64_e32 v[24:25], s[0:1], v[24:25]
	v_cvt_f32_f64_e32 v20, v[20:21]
	v_cvt_f32_f64_e32 v21, v[22:23]
	;; [unrolled: 1-line block ×3, first 2 shown]
	v_add_co_u32 v56, vcc_lo, v54, s8
	s_mov_b32 s3, -1
	s_wait_alu 0xfffd
	v_add_co_ci_u32_e32 v57, vcc_lo, s9, v55, vcc_lo
	s_wait_alu 0xfffe
	s_mul_u64 s[2:3], s[4:5], s[2:3]
	s_wait_alu 0xfffe
	v_add_co_u32 v58, vcc_lo, v56, s2
	v_mul_f64_e32 v[38:39], s[0:1], v[38:39]
	v_cvt_f32_f64_e32 v27, v[34:35]
	v_fma_f32 v34, v151, v3, -v47
	v_dual_mul_f32 v47, v144, v8 :: v_dual_fmac_f32 v48, v149, v14
	v_cvt_f64_f32_e32 v[14:15], v41
	s_wait_alu 0xfffd
	v_add_co_ci_u32_e32 v59, vcc_lo, s3, v57, vcc_lo
	s_delay_alu instid0(VALU_DEP_3)
	v_fma_f32 v47, v143, v9, -v47
	v_cvt_f64_f32_e32 v[40:41], v48
	v_mul_f32_e32 v48, v146, v5
	v_cvt_f64_f32_e32 v[34:35], v34
	v_mul_f64_e32 v[10:11], s[0:1], v[10:11]
	v_mul_f64_e32 v[0:1], s[0:1], v[0:1]
	v_cvt_f32_f64_e32 v12, v[12:13]
	v_fmac_f32_e32 v48, v145, v4
	v_mul_f32_e32 v4, v146, v4
	v_cvt_f32_f64_e32 v13, v[42:43]
	v_add_co_u32 v42, vcc_lo, v58, s8
	s_delay_alu instid0(VALU_DEP_4) | instskip(NEXT) | instid1(VALU_DEP_4)
	v_cvt_f64_f32_e32 v[48:49], v48
	v_fma_f32 v4, v145, v5, -v4
	s_wait_alu 0xfffd
	v_add_co_ci_u32_e32 v43, vcc_lo, s9, v59, vcc_lo
	v_cvt_f32_f64_e32 v26, v[32:33]
	ds_load_b64 v[32:33], v175 offset:7056
	v_mul_f32_e32 v50, v160, v7
	v_cvt_f32_f64_e32 v22, v[24:25]
	v_cvt_f32_f64_e32 v24, v[28:29]
	v_fma_f32 v28, v159, v7, -v51
	v_cvt_f32_f64_e32 v25, v[30:31]
	v_cvt_f64_f32_e32 v[30:31], v46
	v_mul_f32_e32 v46, v144, v9
	v_mul_f32_e32 v51, v156, v18
	v_cvt_f64_f32_e32 v[28:29], v28
	v_cvt_f64_f32_e32 v[4:5], v4
	s_clause 0x3
	global_store_b64 v[36:37], v[20:21], off
	global_store_b64 v[54:55], v[24:25], off
	global_store_b64 v[56:57], v[26:27], off
	global_store_b64 v[58:59], v[22:23], off
	s_wait_dscnt 0x0
	v_dual_mul_f32 v53, v158, v32 :: v_dual_fmac_f32 v50, v159, v6
	v_cvt_f64_f32_e32 v[6:7], v44
	v_mul_f32_e32 v44, v142, v17
	v_mul_f32_e32 v52, v158, v33
	v_fmac_f32_e32 v46, v143, v8
	v_cvt_f64_f32_e32 v[2:3], v50
	v_mul_f32_e32 v50, v156, v19
	v_fmac_f32_e32 v44, v141, v16
	v_fma_f32 v16, v141, v17, -v45
	v_fma_f32 v51, v155, v19, -v51
	v_fmac_f32_e32 v52, v157, v32
	v_fmac_f32_e32 v50, v155, v18
	v_fma_f32 v53, v157, v33, -v53
	v_cvt_f64_f32_e32 v[8:9], v44
	v_cvt_f64_f32_e32 v[16:17], v16
	;; [unrolled: 1-line block ×8, first 2 shown]
	v_mul_f64_e32 v[14:15], s[0:1], v[14:15]
	v_mul_f64_e32 v[40:41], s[0:1], v[40:41]
	;; [unrolled: 1-line block ×7, first 2 shown]
	v_cvt_f32_f64_e32 v0, v[0:1]
	v_cvt_f32_f64_e32 v10, v[10:11]
	;; [unrolled: 1-line block ×3, first 2 shown]
	global_store_b64 v[42:43], v[12:13], off
	v_mul_f64_e32 v[6:7], s[0:1], v[6:7]
	v_mul_f64_e32 v[2:3], s[0:1], v[2:3]
	;; [unrolled: 1-line block ×10, first 2 shown]
	v_cvt_f32_f64_e32 v1, v[14:15]
	v_cvt_f32_f64_e32 v40, v[40:41]
	v_add_co_u32 v14, vcc_lo, v42, s8
	s_wait_alu 0xfffd
	v_add_co_ci_u32_e32 v15, vcc_lo, s9, v43, vcc_lo
	v_cvt_f32_f64_e32 v20, v[20:21]
	s_delay_alu instid0(VALU_DEP_3) | instskip(SKIP_1) | instid1(VALU_DEP_3)
	v_add_co_u32 v38, vcc_lo, v14, s2
	s_wait_alu 0xfffd
	v_add_co_ci_u32_e32 v39, vcc_lo, s3, v15, vcc_lo
	v_cvt_f32_f64_e32 v21, v[22:23]
	v_cvt_f32_f64_e32 v22, v[30:31]
	v_cvt_f32_f64_e32 v23, v[4:5]
	v_cvt_f32_f64_e32 v41, v[6:7]
	v_add_co_u32 v6, vcc_lo, v38, s8
	s_wait_alu 0xfffd
	v_add_co_ci_u32_e32 v7, vcc_lo, s9, v39, vcc_lo
	v_cvt_f32_f64_e32 v2, v[2:3]
	v_cvt_f32_f64_e32 v3, v[28:29]
	;; [unrolled: 1-line block ×10, first 2 shown]
	v_add_co_u32 v24, vcc_lo, v6, s8
	s_wait_alu 0xfffd
	v_add_co_ci_u32_e32 v25, vcc_lo, s9, v7, vcc_lo
	global_store_b64 v[14:15], v[0:1], off
	v_add_co_u32 v12, vcc_lo, v24, s2
	s_wait_alu 0xfffd
	v_add_co_ci_u32_e32 v13, vcc_lo, s3, v25, vcc_lo
	global_store_b64 v[38:39], v[10:11], off
	v_add_co_u32 v0, vcc_lo, v12, s8
	s_wait_alu 0xfffd
	v_add_co_ci_u32_e32 v1, vcc_lo, s9, v13, vcc_lo
	s_delay_alu instid0(VALU_DEP_2) | instskip(SKIP_1) | instid1(VALU_DEP_2)
	v_add_co_u32 v10, vcc_lo, v0, s8
	s_wait_alu 0xfffd
	v_add_co_ci_u32_e32 v11, vcc_lo, s9, v1, vcc_lo
	global_store_b64 v[6:7], v[40:41], off
	v_add_co_u32 v6, vcc_lo, v10, s2
	s_wait_alu 0xfffd
	v_add_co_ci_u32_e32 v7, vcc_lo, s3, v11, vcc_lo
	global_store_b64 v[24:25], v[2:3], off
	;; [unrolled: 4-line block ×4, first 2 shown]
	global_store_b64 v[10:11], v[16:17], off
	global_store_b64 v[6:7], v[22:23], off
	;; [unrolled: 1-line block ×4, first 2 shown]
.LBB0_10:
	s_nop 0
	s_sendmsg sendmsg(MSG_DEALLOC_VGPRS)
	s_endpgm
	.section	.rodata,"a",@progbits
	.p2align	6, 0x0
	.amdhsa_kernel bluestein_single_fwd_len945_dim1_sp_op_CI_CI
		.amdhsa_group_segment_fixed_size 7560
		.amdhsa_private_segment_fixed_size 0
		.amdhsa_kernarg_size 104
		.amdhsa_user_sgpr_count 2
		.amdhsa_user_sgpr_dispatch_ptr 0
		.amdhsa_user_sgpr_queue_ptr 0
		.amdhsa_user_sgpr_kernarg_segment_ptr 1
		.amdhsa_user_sgpr_dispatch_id 0
		.amdhsa_user_sgpr_private_segment_size 0
		.amdhsa_wavefront_size32 1
		.amdhsa_uses_dynamic_stack 0
		.amdhsa_enable_private_segment 0
		.amdhsa_system_sgpr_workgroup_id_x 1
		.amdhsa_system_sgpr_workgroup_id_y 0
		.amdhsa_system_sgpr_workgroup_id_z 0
		.amdhsa_system_sgpr_workgroup_info 0
		.amdhsa_system_vgpr_workitem_id 0
		.amdhsa_next_free_vgpr 235
		.amdhsa_next_free_sgpr 20
		.amdhsa_reserve_vcc 1
		.amdhsa_float_round_mode_32 0
		.amdhsa_float_round_mode_16_64 0
		.amdhsa_float_denorm_mode_32 3
		.amdhsa_float_denorm_mode_16_64 3
		.amdhsa_fp16_overflow 0
		.amdhsa_workgroup_processor_mode 1
		.amdhsa_memory_ordered 1
		.amdhsa_forward_progress 0
		.amdhsa_round_robin_scheduling 0
		.amdhsa_exception_fp_ieee_invalid_op 0
		.amdhsa_exception_fp_denorm_src 0
		.amdhsa_exception_fp_ieee_div_zero 0
		.amdhsa_exception_fp_ieee_overflow 0
		.amdhsa_exception_fp_ieee_underflow 0
		.amdhsa_exception_fp_ieee_inexact 0
		.amdhsa_exception_int_div_zero 0
	.end_amdhsa_kernel
	.text
.Lfunc_end0:
	.size	bluestein_single_fwd_len945_dim1_sp_op_CI_CI, .Lfunc_end0-bluestein_single_fwd_len945_dim1_sp_op_CI_CI
                                        ; -- End function
	.section	.AMDGPU.csdata,"",@progbits
; Kernel info:
; codeLenInByte = 16904
; NumSgprs: 22
; NumVgprs: 235
; ScratchSize: 0
; MemoryBound: 0
; FloatMode: 240
; IeeeMode: 1
; LDSByteSize: 7560 bytes/workgroup (compile time only)
; SGPRBlocks: 2
; VGPRBlocks: 29
; NumSGPRsForWavesPerEU: 22
; NumVGPRsForWavesPerEU: 235
; Occupancy: 6
; WaveLimiterHint : 1
; COMPUTE_PGM_RSRC2:SCRATCH_EN: 0
; COMPUTE_PGM_RSRC2:USER_SGPR: 2
; COMPUTE_PGM_RSRC2:TRAP_HANDLER: 0
; COMPUTE_PGM_RSRC2:TGID_X_EN: 1
; COMPUTE_PGM_RSRC2:TGID_Y_EN: 0
; COMPUTE_PGM_RSRC2:TGID_Z_EN: 0
; COMPUTE_PGM_RSRC2:TIDIG_COMP_CNT: 0
	.text
	.p2alignl 7, 3214868480
	.fill 96, 4, 3214868480
	.type	__hip_cuid_b641bd02128b42f9,@object ; @__hip_cuid_b641bd02128b42f9
	.section	.bss,"aw",@nobits
	.globl	__hip_cuid_b641bd02128b42f9
__hip_cuid_b641bd02128b42f9:
	.byte	0                               ; 0x0
	.size	__hip_cuid_b641bd02128b42f9, 1

	.ident	"AMD clang version 19.0.0git (https://github.com/RadeonOpenCompute/llvm-project roc-6.4.0 25133 c7fe45cf4b819c5991fe208aaa96edf142730f1d)"
	.section	".note.GNU-stack","",@progbits
	.addrsig
	.addrsig_sym __hip_cuid_b641bd02128b42f9
	.amdgpu_metadata
---
amdhsa.kernels:
  - .args:
      - .actual_access:  read_only
        .address_space:  global
        .offset:         0
        .size:           8
        .value_kind:     global_buffer
      - .actual_access:  read_only
        .address_space:  global
        .offset:         8
        .size:           8
        .value_kind:     global_buffer
      - .actual_access:  read_only
        .address_space:  global
        .offset:         16
        .size:           8
        .value_kind:     global_buffer
      - .actual_access:  read_only
        .address_space:  global
        .offset:         24
        .size:           8
        .value_kind:     global_buffer
      - .actual_access:  read_only
        .address_space:  global
        .offset:         32
        .size:           8
        .value_kind:     global_buffer
      - .offset:         40
        .size:           8
        .value_kind:     by_value
      - .address_space:  global
        .offset:         48
        .size:           8
        .value_kind:     global_buffer
      - .address_space:  global
        .offset:         56
        .size:           8
        .value_kind:     global_buffer
      - .address_space:  global
        .offset:         64
        .size:           8
        .value_kind:     global_buffer
      - .address_space:  global
        .offset:         72
        .size:           8
        .value_kind:     global_buffer
      - .offset:         80
        .size:           4
        .value_kind:     by_value
      - .address_space:  global
        .offset:         88
        .size:           8
        .value_kind:     global_buffer
      - .address_space:  global
        .offset:         96
        .size:           8
        .value_kind:     global_buffer
    .group_segment_fixed_size: 7560
    .kernarg_segment_align: 8
    .kernarg_segment_size: 104
    .language:       OpenCL C
    .language_version:
      - 2
      - 0
    .max_flat_workgroup_size: 63
    .name:           bluestein_single_fwd_len945_dim1_sp_op_CI_CI
    .private_segment_fixed_size: 0
    .sgpr_count:     22
    .sgpr_spill_count: 0
    .symbol:         bluestein_single_fwd_len945_dim1_sp_op_CI_CI.kd
    .uniform_work_group_size: 1
    .uses_dynamic_stack: false
    .vgpr_count:     235
    .vgpr_spill_count: 0
    .wavefront_size: 32
    .workgroup_processor_mode: 1
amdhsa.target:   amdgcn-amd-amdhsa--gfx1201
amdhsa.version:
  - 1
  - 2
...

	.end_amdgpu_metadata
